;; amdgpu-corpus repo=ggml-org/llama.cpp kind=compiled arch=gfx1250 opt=O3
	.amdgcn_target "amdgcn-amd-amdhsa--gfx1250"
	.amdhsa_code_object_version 6
	.section	.text._ZL10tri_kernelIfLb1ELi0EEvPKT_PS0_llllllllllll,"axG",@progbits,_ZL10tri_kernelIfLb1ELi0EEvPKT_PS0_llllllllllll,comdat
	.globl	_ZL10tri_kernelIfLb1ELi0EEvPKT_PS0_llllllllllll ; -- Begin function _ZL10tri_kernelIfLb1ELi0EEvPKT_PS0_llllllllllll
	.p2align	8
	.type	_ZL10tri_kernelIfLb1ELi0EEvPKT_PS0_llllllllllll,@function
_ZL10tri_kernelIfLb1ELi0EEvPKT_PS0_llllllllllll: ; @_ZL10tri_kernelIfLb1ELi0EEvPKT_PS0_llllllllllll
; %bb.0:
	s_clause 0x1
	s_load_b128 s[20:23], s[0:1], 0x20
	s_load_b256 s[4:11], s[0:1], 0x0
	s_bfe_u32 s2, ttmp6, 0x4000c
	s_bfe_u32 s12, ttmp6, 0x40010
	s_add_co_i32 s2, s2, 1
	s_and_b32 s3, ttmp6, 15
	s_mul_i32 s2, ttmp9, s2
	s_and_b32 s13, ttmp7, 0xffff
	s_add_co_i32 s12, s12, 1
	s_bfe_u32 s14, ttmp6, 0x40014
	s_add_co_i32 s3, s3, s2
	s_mul_i32 s2, s13, s12
	s_bfe_u32 s12, ttmp6, 0x40004
	s_lshr_b32 s15, ttmp7, 16
	s_add_co_i32 s14, s14, 1
	s_add_co_i32 s12, s12, s2
	s_mul_i32 s2, s15, s14
	s_bfe_u32 s14, ttmp6, 0x40008
	s_getreg_b32 s16, hwreg(HW_REG_IB_STS2, 6, 4)
	s_add_co_i32 s14, s14, s2
	s_cmp_eq_u32 s16, 0
	s_mov_b32 s17, 0
	s_cselect_b32 s16, s15, s14
	s_cselect_b32 s18, s13, s12
	s_mov_b32 s19, s17
	s_cselect_b32 s14, ttmp9, s3
	s_mov_b32 s15, s17
	s_wait_kmcnt 0x0
	v_cmp_le_i64_e64 s2, s[22:23], s[16:17]
	v_cmp_le_i64_e64 s3, s[20:21], s[18:19]
	;; [unrolled: 1-line block ×3, first 2 shown]
	s_or_b32 s2, s3, s2
	s_delay_alu instid0(SALU_CYCLE_1) | instskip(NEXT) | instid1(SALU_CYCLE_1)
	s_or_b32 s2, s10, s2
	s_and_b32 vcc_lo, exec_lo, s2
	s_cbranch_vccnz .LBB0_12
; %bb.1:
	s_clause 0x1
	s_load_b128 s[20:23], s[0:1], 0x58
	s_load_b64 s[12:13], s[0:1], 0x68
	v_mov_b32_e32 v1, 0
	s_wait_kmcnt 0x0
	s_mul_u64 s[2:3], s[20:21], s[14:15]
	s_mul_u64 s[10:11], s[22:23], s[18:19]
	;; [unrolled: 1-line block ×3, first 2 shown]
	s_mov_b32 s22, exec_lo
	v_cmpx_gt_u32_e64 s14, v0
	s_cbranch_execz .LBB0_4
; %bb.2:
	s_clause 0x2
	s_load_b32 s20, s[0:1], 0x7c
	s_load_b64 s[28:29], s[0:1], 0x48
	s_load_b128 s[24:27], s[0:1], 0x38
	s_lshl_b64 s[30:31], s[12:13], 2
	s_lshl_b64 s[34:35], s[10:11], 2
	;; [unrolled: 1-line block ×3, first 2 shown]
	s_add_nc_u64 s[30:31], s[30:31], s[34:35]
	v_dual_mov_b32 v5, v1 :: v_dual_lshlrev_b32 v4, 2, v0
	v_mov_b64_e32 v[6:7], v[0:1]
	s_mov_b32 s21, 0
	s_wait_kmcnt 0x0
	s_and_b32 s20, s20, 0xffff
	s_mul_u64 s[16:17], s[28:29], s[16:17]
	s_mul_u64 s[18:19], s[26:27], s[18:19]
	s_lshl_b64 s[16:17], s[16:17], 2
	s_lshl_b64 s[18:19], s[18:19], 2
	s_mul_u64 s[24:25], s[24:25], s[14:15]
	s_add_nc_u64 s[16:17], s[16:17], s[18:19]
	s_lshl_b64 s[18:19], s[24:25], 2
	s_add_nc_u64 s[24:25], s[30:31], s[36:37]
	s_add_nc_u64 s[16:17], s[16:17], s[18:19]
	s_add_nc_u64 s[18:19], s[6:7], s[24:25]
	s_add_nc_u64 s[4:5], s[4:5], s[16:17]
	v_add_nc_u64_e32 v[2:3], s[18:19], v[4:5]
	v_add_nc_u64_e32 v[4:5], s[4:5], v[4:5]
	s_lshl_b32 s4, s20, 2
	s_mov_b32 s5, s21
	s_mov_b64 s[16:17], 0
	s_mov_b32 s18, s21
.LBB0_3:                                ; =>This Inner Loop Header: Depth=1
	s_delay_alu instid0(VALU_DEP_1)
	v_add_nc_u64_e32 v[8:9], s[16:17], v[4:5]
	v_add_nc_u64_e32 v[6:7], s[20:21], v[6:7]
	global_load_b32 v10, v[8:9], off
	v_cmp_le_u64_e32 vcc_lo, s[14:15], v[6:7]
	s_wait_xcnt 0x0
	v_add_nc_u64_e32 v[8:9], s[16:17], v[2:3]
	s_add_nc_u64 s[16:17], s[16:17], s[4:5]
	s_or_b32 s18, vcc_lo, s18
	s_wait_loadcnt 0x0
	global_store_b32 v[8:9], v10, off
	s_wait_xcnt 0x0
	s_and_not1_b32 exec_lo, exec_lo, s18
	s_cbranch_execnz .LBB0_3
.LBB0_4:
	s_or_b32 exec_lo, exec_lo, s22
	v_add_nc_u64_e32 v[0:1], s[14:15], v[0:1]
	s_mov_b32 s4, exec_lo
	s_delay_alu instid0(VALU_DEP_1)
	v_cmpx_gt_i64_e64 s[8:9], v[0:1]
	s_cbranch_execz .LBB0_12
; %bb.5:
	v_add_nc_u64_e32 v[2:3], 1, v[0:1]
	s_load_b32 s0, s[0:1], 0x7c
	s_mov_b32 s4, -1
	s_delay_alu instid0(VALU_DEP_1) | instskip(SKIP_2) | instid1(SALU_CYCLE_1)
	v_max_i64 v[2:3], s[8:9], v[2:3]
	s_wait_kmcnt 0x0
	s_and_b32 s0, s0, 0xffff
	s_cmp_eq_u32 s0, 1
	s_cselect_b32 s1, -1, 0
	s_delay_alu instid0(VALU_DEP_1) | instskip(NEXT) | instid1(VALU_DEP_1)
	v_sub_nc_u64_e32 v[2:3], v[2:3], v[0:1]
	v_cmp_lt_u64_e32 vcc_lo, 1, v[2:3]
	s_and_b32 s5, vcc_lo, s1
	s_delay_alu instid0(SALU_CYCLE_1)
	s_and_saveexec_b32 s1, s5
	s_cbranch_execz .LBB0_9
; %bb.6:
	s_lshl_b64 s[4:5], s[2:3], 2
	v_dual_mov_b32 v5, v3 :: v_dual_bitop2_b32 v4, -2, v2 bitop3:0x40
	s_lshl_b64 s[14:15], s[10:11], 2
	s_add_nc_u64 s[4:5], s[6:7], s[4:5]
	s_lshl_b64 s[16:17], s[12:13], 2
	s_add_nc_u64 s[4:5], s[4:5], s[14:15]
	v_mov_b64_e32 v[6:7], 0
	s_add_nc_u64 s[4:5], s[4:5], s[16:17]
	v_mov_b64_e32 v[10:11], v[4:5]
	v_lshl_add_u64 v[8:9], v[0:1], 2, s[4:5]
	s_mov_b32 s4, 0
.LBB0_7:                                ; =>This Inner Loop Header: Depth=1
	s_delay_alu instid0(VALU_DEP_2)
	v_add_nc_u64_e32 v[10:11], -2, v[10:11]
	global_store_b64 v[8:9], v[6:7], off
	s_wait_xcnt 0x0
	v_add_nc_u64_e32 v[8:9], 8, v[8:9]
	v_cmp_eq_u64_e32 vcc_lo, 0, v[10:11]
	s_or_b32 s4, vcc_lo, s4
	s_delay_alu instid0(SALU_CYCLE_1)
	s_and_not1_b32 exec_lo, exec_lo, s4
	s_cbranch_execnz .LBB0_7
; %bb.8:
	s_or_b32 exec_lo, exec_lo, s4
	v_cmp_ne_u64_e32 vcc_lo, v[2:3], v[4:5]
	v_add_nc_u64_e32 v[0:1], v[0:1], v[4:5]
	s_or_not1_b32 s4, vcc_lo, exec_lo
.LBB0_9:
	s_or_b32 exec_lo, exec_lo, s1
	s_delay_alu instid0(SALU_CYCLE_1)
	s_and_b32 exec_lo, exec_lo, s4
	s_cbranch_execz .LBB0_12
; %bb.10:
	s_lshl_b64 s[4:5], s[12:13], 2
	s_lshl_b64 s[10:11], s[10:11], 2
	;; [unrolled: 1-line block ×3, first 2 shown]
	s_add_nc_u64 s[4:5], s[4:5], s[10:11]
	v_mov_b32_e32 v4, 0
	s_add_nc_u64 s[2:3], s[4:5], s[2:3]
	s_mov_b32 s1, 0
	s_add_nc_u64 s[2:3], s[6:7], s[2:3]
	s_mov_b32 s4, s1
	v_lshl_add_u64 v[2:3], v[0:1], 2, s[2:3]
	s_lshl_b32 s2, s0, 2
	s_mov_b32 s3, s1
.LBB0_11:                               ; =>This Inner Loop Header: Depth=1
	v_add_nc_u64_e32 v[0:1], s[0:1], v[0:1]
	global_store_b32 v[2:3], v4, off
	s_wait_xcnt 0x0
	v_add_nc_u64_e32 v[2:3], s[2:3], v[2:3]
	v_cmp_le_i64_e32 vcc_lo, s[8:9], v[0:1]
	s_or_b32 s4, vcc_lo, s4
	s_delay_alu instid0(SALU_CYCLE_1)
	s_and_not1_b32 exec_lo, exec_lo, s4
	s_cbranch_execnz .LBB0_11
.LBB0_12:
	s_endpgm
	.section	.rodata,"a",@progbits
	.p2align	6, 0x0
	.amdhsa_kernel _ZL10tri_kernelIfLb1ELi0EEvPKT_PS0_llllllllllll
		.amdhsa_group_segment_fixed_size 0
		.amdhsa_private_segment_fixed_size 0
		.amdhsa_kernarg_size 368
		.amdhsa_user_sgpr_count 2
		.amdhsa_user_sgpr_dispatch_ptr 0
		.amdhsa_user_sgpr_queue_ptr 0
		.amdhsa_user_sgpr_kernarg_segment_ptr 1
		.amdhsa_user_sgpr_dispatch_id 0
		.amdhsa_user_sgpr_kernarg_preload_length 0
		.amdhsa_user_sgpr_kernarg_preload_offset 0
		.amdhsa_user_sgpr_private_segment_size 0
		.amdhsa_wavefront_size32 1
		.amdhsa_uses_dynamic_stack 0
		.amdhsa_enable_private_segment 0
		.amdhsa_system_sgpr_workgroup_id_x 1
		.amdhsa_system_sgpr_workgroup_id_y 1
		.amdhsa_system_sgpr_workgroup_id_z 1
		.amdhsa_system_sgpr_workgroup_info 0
		.amdhsa_system_vgpr_workitem_id 0
		.amdhsa_next_free_vgpr 12
		.amdhsa_next_free_sgpr 38
		.amdhsa_named_barrier_count 0
		.amdhsa_reserve_vcc 1
		.amdhsa_float_round_mode_32 0
		.amdhsa_float_round_mode_16_64 0
		.amdhsa_float_denorm_mode_32 3
		.amdhsa_float_denorm_mode_16_64 3
		.amdhsa_fp16_overflow 0
		.amdhsa_memory_ordered 1
		.amdhsa_forward_progress 1
		.amdhsa_inst_pref_size 7
		.amdhsa_round_robin_scheduling 0
		.amdhsa_exception_fp_ieee_invalid_op 0
		.amdhsa_exception_fp_denorm_src 0
		.amdhsa_exception_fp_ieee_div_zero 0
		.amdhsa_exception_fp_ieee_overflow 0
		.amdhsa_exception_fp_ieee_underflow 0
		.amdhsa_exception_fp_ieee_inexact 0
		.amdhsa_exception_int_div_zero 0
	.end_amdhsa_kernel
	.section	.text._ZL10tri_kernelIfLb1ELi0EEvPKT_PS0_llllllllllll,"axG",@progbits,_ZL10tri_kernelIfLb1ELi0EEvPKT_PS0_llllllllllll,comdat
.Lfunc_end0:
	.size	_ZL10tri_kernelIfLb1ELi0EEvPKT_PS0_llllllllllll, .Lfunc_end0-_ZL10tri_kernelIfLb1ELi0EEvPKT_PS0_llllllllllll
                                        ; -- End function
	.set _ZL10tri_kernelIfLb1ELi0EEvPKT_PS0_llllllllllll.num_vgpr, 12
	.set _ZL10tri_kernelIfLb1ELi0EEvPKT_PS0_llllllllllll.num_agpr, 0
	.set _ZL10tri_kernelIfLb1ELi0EEvPKT_PS0_llllllllllll.numbered_sgpr, 38
	.set _ZL10tri_kernelIfLb1ELi0EEvPKT_PS0_llllllllllll.num_named_barrier, 0
	.set _ZL10tri_kernelIfLb1ELi0EEvPKT_PS0_llllllllllll.private_seg_size, 0
	.set _ZL10tri_kernelIfLb1ELi0EEvPKT_PS0_llllllllllll.uses_vcc, 1
	.set _ZL10tri_kernelIfLb1ELi0EEvPKT_PS0_llllllllllll.uses_flat_scratch, 0
	.set _ZL10tri_kernelIfLb1ELi0EEvPKT_PS0_llllllllllll.has_dyn_sized_stack, 0
	.set _ZL10tri_kernelIfLb1ELi0EEvPKT_PS0_llllllllllll.has_recursion, 0
	.set _ZL10tri_kernelIfLb1ELi0EEvPKT_PS0_llllllllllll.has_indirect_call, 0
	.section	.AMDGPU.csdata,"",@progbits
; Kernel info:
; codeLenInByte = 800
; TotalNumSgprs: 40
; NumVgprs: 12
; ScratchSize: 0
; MemoryBound: 0
; FloatMode: 240
; IeeeMode: 1
; LDSByteSize: 0 bytes/workgroup (compile time only)
; SGPRBlocks: 0
; VGPRBlocks: 0
; NumSGPRsForWavesPerEU: 40
; NumVGPRsForWavesPerEU: 12
; NamedBarCnt: 0
; Occupancy: 16
; WaveLimiterHint : 0
; COMPUTE_PGM_RSRC2:SCRATCH_EN: 0
; COMPUTE_PGM_RSRC2:USER_SGPR: 2
; COMPUTE_PGM_RSRC2:TRAP_HANDLER: 0
; COMPUTE_PGM_RSRC2:TGID_X_EN: 1
; COMPUTE_PGM_RSRC2:TGID_Y_EN: 1
; COMPUTE_PGM_RSRC2:TGID_Z_EN: 1
; COMPUTE_PGM_RSRC2:TIDIG_COMP_CNT: 0
	.section	.text._ZL10tri_kernelIfLb1ELi1EEvPKT_PS0_llllllllllll,"axG",@progbits,_ZL10tri_kernelIfLb1ELi1EEvPKT_PS0_llllllllllll,comdat
	.globl	_ZL10tri_kernelIfLb1ELi1EEvPKT_PS0_llllllllllll ; -- Begin function _ZL10tri_kernelIfLb1ELi1EEvPKT_PS0_llllllllllll
	.p2align	8
	.type	_ZL10tri_kernelIfLb1ELi1EEvPKT_PS0_llllllllllll,@function
_ZL10tri_kernelIfLb1ELi1EEvPKT_PS0_llllllllllll: ; @_ZL10tri_kernelIfLb1ELi1EEvPKT_PS0_llllllllllll
; %bb.0:
	s_clause 0x1
	s_load_b128 s[20:23], s[0:1], 0x20
	s_load_b256 s[4:11], s[0:1], 0x0
	s_bfe_u32 s2, ttmp6, 0x4000c
	s_bfe_u32 s12, ttmp6, 0x40010
	s_add_co_i32 s2, s2, 1
	s_and_b32 s3, ttmp6, 15
	s_mul_i32 s2, ttmp9, s2
	s_and_b32 s13, ttmp7, 0xffff
	s_add_co_i32 s12, s12, 1
	s_bfe_u32 s14, ttmp6, 0x40014
	s_add_co_i32 s3, s3, s2
	s_mul_i32 s2, s13, s12
	s_bfe_u32 s12, ttmp6, 0x40004
	s_lshr_b32 s15, ttmp7, 16
	s_add_co_i32 s14, s14, 1
	s_add_co_i32 s12, s12, s2
	s_mul_i32 s2, s15, s14
	s_bfe_u32 s14, ttmp6, 0x40008
	s_getreg_b32 s16, hwreg(HW_REG_IB_STS2, 6, 4)
	s_add_co_i32 s14, s14, s2
	s_cmp_eq_u32 s16, 0
	s_mov_b32 s17, 0
	s_cselect_b32 s16, s15, s14
	s_cselect_b32 s18, s13, s12
	s_mov_b32 s19, s17
	s_cselect_b32 s14, ttmp9, s3
	s_mov_b32 s15, s17
	s_wait_kmcnt 0x0
	v_cmp_le_i64_e64 s2, s[22:23], s[16:17]
	v_cmp_le_i64_e64 s3, s[20:21], s[18:19]
	;; [unrolled: 1-line block ×3, first 2 shown]
	s_or_b32 s2, s3, s2
	s_delay_alu instid0(SALU_CYCLE_1) | instskip(NEXT) | instid1(SALU_CYCLE_1)
	s_or_b32 s2, s10, s2
	s_and_b32 vcc_lo, exec_lo, s2
	s_cbranch_vccnz .LBB1_14
; %bb.1:
	s_clause 0x1
	s_load_b64 s[2:3], s[0:1], 0x68
	s_load_b128 s[20:23], s[0:1], 0x58
	v_mov_b32_e32 v1, 0
	s_wait_kmcnt 0x0
	s_mul_u64 s[10:11], s[2:3], s[16:17]
	s_mul_u64 s[12:13], s[22:23], s[18:19]
	;; [unrolled: 1-line block ×3, first 2 shown]
	s_mov_b32 s22, exec_lo
	v_cmpx_ge_u32_e64 s14, v0
	s_cbranch_execz .LBB1_4
; %bb.2:
	s_clause 0x2
	s_load_b32 s20, s[0:1], 0x7c
	s_load_b64 s[28:29], s[0:1], 0x48
	s_load_b128 s[24:27], s[0:1], 0x38
	s_lshl_b64 s[30:31], s[10:11], 2
	s_lshl_b64 s[34:35], s[12:13], 2
	;; [unrolled: 1-line block ×3, first 2 shown]
	s_add_nc_u64 s[30:31], s[30:31], s[34:35]
	v_dual_mov_b32 v5, v1 :: v_dual_lshlrev_b32 v4, 2, v0
	v_mov_b64_e32 v[6:7], v[0:1]
	s_mov_b32 s21, 0
	s_wait_kmcnt 0x0
	s_and_b32 s20, s20, 0xffff
	s_mul_u64 s[16:17], s[28:29], s[16:17]
	s_mul_u64 s[18:19], s[26:27], s[18:19]
	s_lshl_b64 s[16:17], s[16:17], 2
	s_lshl_b64 s[18:19], s[18:19], 2
	s_mul_u64 s[24:25], s[24:25], s[14:15]
	s_add_nc_u64 s[16:17], s[16:17], s[18:19]
	s_lshl_b64 s[18:19], s[24:25], 2
	s_add_nc_u64 s[24:25], s[30:31], s[36:37]
	s_add_nc_u64 s[16:17], s[16:17], s[18:19]
	;; [unrolled: 1-line block ×4, first 2 shown]
	v_add_nc_u64_e32 v[2:3], s[18:19], v[4:5]
	v_add_nc_u64_e32 v[4:5], s[4:5], v[4:5]
	s_lshl_b32 s4, s20, 2
	s_mov_b32 s5, s21
	s_mov_b64 s[16:17], 0
	s_mov_b32 s18, s21
.LBB1_3:                                ; =>This Inner Loop Header: Depth=1
	s_delay_alu instid0(VALU_DEP_1)
	v_add_nc_u64_e32 v[8:9], s[16:17], v[4:5]
	v_add_nc_u64_e32 v[6:7], s[20:21], v[6:7]
	global_load_b32 v10, v[8:9], off
	v_cmp_lt_u64_e32 vcc_lo, s[14:15], v[6:7]
	s_wait_xcnt 0x0
	v_add_nc_u64_e32 v[8:9], s[16:17], v[2:3]
	s_add_nc_u64 s[16:17], s[16:17], s[4:5]
	s_or_b32 s18, vcc_lo, s18
	s_wait_loadcnt 0x0
	global_store_b32 v[8:9], v10, off
	s_wait_xcnt 0x0
	s_and_not1_b32 exec_lo, exec_lo, s18
	s_cbranch_execnz .LBB1_3
.LBB1_4:
	s_or_b32 exec_lo, exec_lo, s22
	s_add_nc_u64 s[4:5], s[14:15], 1
	s_delay_alu instid0(SALU_CYCLE_1) | instskip(SKIP_1) | instid1(VALU_DEP_1)
	v_add_nc_u64_e32 v[2:3], s[4:5], v[0:1]
	s_mov_b32 s4, exec_lo
	v_cmpx_gt_i64_e64 s[8:9], v[2:3]
	s_cbranch_execz .LBB1_14
; %bb.5:
	v_add_nc_u64_e32 v[4:5], s[14:15], v[0:1]
	s_load_b32 s0, s[0:1], 0x7c
                                        ; implicit-def: $sgpr4_sgpr5
	s_delay_alu instid0(VALU_DEP_1) | instskip(SKIP_2) | instid1(VALU_DEP_3)
	v_add_nc_u64_e32 v[0:1], 2, v[4:5]
	v_not_b32_e32 v7, v5
	v_not_b32_e32 v6, v4
	v_max_i64 v[0:1], s[8:9], v[0:1]
	s_wait_kmcnt 0x0
	s_and_b32 s0, s0, 0xffff
	s_delay_alu instid0(SALU_CYCLE_1) | instskip(SKIP_1) | instid1(VALU_DEP_1)
	s_cmp_lg_u32 s0, 1
	s_cselect_b32 s1, -1, 0
	v_add_nc_u64_e32 v[0:1], v[0:1], v[6:7]
	s_delay_alu instid0(VALU_DEP_1) | instskip(SKIP_3) | instid1(SALU_CYCLE_1)
	v_cmp_gt_u64_e32 vcc_lo, 2, v[0:1]
	s_or_b32 s14, vcc_lo, s1
	s_mov_b32 s1, 0
	s_and_saveexec_b32 s15, s14
	s_xor_b32 s14, exec_lo, s15
	s_cbranch_execnz .LBB1_8
; %bb.6:
	s_or_saveexec_b32 s14, s14
	v_mov_b64_e32 v[6:7], s[4:5]
	s_xor_b32 exec_lo, exec_lo, s14
	s_cbranch_execnz .LBB1_9
.LBB1_7:
	s_or_b32 exec_lo, exec_lo, s14
	s_delay_alu instid0(SALU_CYCLE_1)
	s_and_b32 exec_lo, exec_lo, s1
	s_cbranch_execnz .LBB1_12
	s_branch .LBB1_14
.LBB1_8:
	s_lshl_b64 s[4:5], s[10:11], 2
	s_lshl_b64 s[16:17], s[12:13], 2
	s_mov_b32 s1, exec_lo
	s_add_nc_u64 s[4:5], s[4:5], s[16:17]
	s_lshl_b64 s[16:17], s[2:3], 2
                                        ; implicit-def: $vgpr0_vgpr1
                                        ; implicit-def: $vgpr4_vgpr5
	s_delay_alu instid0(SALU_CYCLE_1)
	s_add_nc_u64 s[4:5], s[4:5], s[16:17]
	s_or_saveexec_b32 s14, s14
	v_mov_b64_e32 v[6:7], s[4:5]
	s_xor_b32 exec_lo, exec_lo, s14
	s_cbranch_execz .LBB1_7
.LBB1_9:
	s_lshl_b64 s[4:5], s[10:11], 2
	s_lshl_b64 s[10:11], s[12:13], 2
	;; [unrolled: 1-line block ×3, first 2 shown]
	s_add_nc_u64 s[4:5], s[4:5], s[10:11]
	v_mov_b64_e32 v[8:9], 0
	s_add_nc_u64 s[2:3], s[4:5], s[2:3]
	s_delay_alu instid0(SALU_CYCLE_1) | instskip(NEXT) | instid1(SALU_CYCLE_1)
	s_add_nc_u64 s[4:5], s[6:7], s[2:3]
	v_lshl_add_u64 v[6:7], v[4:5], 2, s[4:5]
	v_dual_mov_b32 v5, v1 :: v_dual_bitop2_b32 v4, -2, v0 bitop3:0x40
	s_mov_b32 s4, 0
	s_delay_alu instid0(VALU_DEP_2) | instskip(NEXT) | instid1(VALU_DEP_2)
	v_add_nc_u64_e32 v[6:7], 4, v[6:7]
	v_mov_b64_e32 v[10:11], v[4:5]
.LBB1_10:                               ; =>This Inner Loop Header: Depth=1
	s_delay_alu instid0(VALU_DEP_1)
	v_add_nc_u64_e32 v[10:11], -2, v[10:11]
	global_store_b64 v[6:7], v[8:9], off
	s_wait_xcnt 0x0
	v_add_nc_u64_e32 v[6:7], 8, v[6:7]
	v_cmp_eq_u64_e32 vcc_lo, 0, v[10:11]
	s_or_b32 s4, vcc_lo, s4
	s_delay_alu instid0(SALU_CYCLE_1)
	s_and_not1_b32 exec_lo, exec_lo, s4
	s_cbranch_execnz .LBB1_10
; %bb.11:
	s_or_b32 exec_lo, exec_lo, s4
	v_cmp_ne_u64_e32 vcc_lo, v[0:1], v[4:5]
	v_add_nc_u64_e32 v[2:3], v[2:3], v[4:5]
	v_mov_b64_e32 v[6:7], s[2:3]
	s_and_not1_b32 s1, s1, exec_lo
	s_and_b32 s2, vcc_lo, exec_lo
	s_delay_alu instid0(SALU_CYCLE_1) | instskip(SKIP_1) | instid1(SALU_CYCLE_1)
	s_or_b32 s1, s1, s2
	s_or_b32 exec_lo, exec_lo, s14
	s_and_b32 exec_lo, exec_lo, s1
	s_cbranch_execz .LBB1_14
.LBB1_12:
	v_lshl_add_u64 v[0:1], v[2:3], 2, v[6:7]
	v_mov_b32_e32 v4, 0
	s_mov_b32 s1, 0
	s_lshl_b32 s2, s0, 2
	s_mov_b32 s3, s1
	v_add_nc_u64_e32 v[0:1], s[6:7], v[0:1]
	s_mov_b32 s4, s1
.LBB1_13:                               ; =>This Inner Loop Header: Depth=1
	v_add_nc_u64_e32 v[2:3], s[0:1], v[2:3]
	global_store_b32 v[0:1], v4, off
	s_wait_xcnt 0x0
	v_add_nc_u64_e32 v[0:1], s[2:3], v[0:1]
	v_cmp_le_i64_e32 vcc_lo, s[8:9], v[2:3]
	s_or_b32 s4, vcc_lo, s4
	s_delay_alu instid0(SALU_CYCLE_1)
	s_and_not1_b32 exec_lo, exec_lo, s4
	s_cbranch_execnz .LBB1_13
.LBB1_14:
	s_endpgm
	.section	.rodata,"a",@progbits
	.p2align	6, 0x0
	.amdhsa_kernel _ZL10tri_kernelIfLb1ELi1EEvPKT_PS0_llllllllllll
		.amdhsa_group_segment_fixed_size 0
		.amdhsa_private_segment_fixed_size 0
		.amdhsa_kernarg_size 368
		.amdhsa_user_sgpr_count 2
		.amdhsa_user_sgpr_dispatch_ptr 0
		.amdhsa_user_sgpr_queue_ptr 0
		.amdhsa_user_sgpr_kernarg_segment_ptr 1
		.amdhsa_user_sgpr_dispatch_id 0
		.amdhsa_user_sgpr_kernarg_preload_length 0
		.amdhsa_user_sgpr_kernarg_preload_offset 0
		.amdhsa_user_sgpr_private_segment_size 0
		.amdhsa_wavefront_size32 1
		.amdhsa_uses_dynamic_stack 0
		.amdhsa_enable_private_segment 0
		.amdhsa_system_sgpr_workgroup_id_x 1
		.amdhsa_system_sgpr_workgroup_id_y 1
		.amdhsa_system_sgpr_workgroup_id_z 1
		.amdhsa_system_sgpr_workgroup_info 0
		.amdhsa_system_vgpr_workitem_id 0
		.amdhsa_next_free_vgpr 12
		.amdhsa_next_free_sgpr 38
		.amdhsa_named_barrier_count 0
		.amdhsa_reserve_vcc 1
		.amdhsa_float_round_mode_32 0
		.amdhsa_float_round_mode_16_64 0
		.amdhsa_float_denorm_mode_32 3
		.amdhsa_float_denorm_mode_16_64 3
		.amdhsa_fp16_overflow 0
		.amdhsa_memory_ordered 1
		.amdhsa_forward_progress 1
		.amdhsa_inst_pref_size 8
		.amdhsa_round_robin_scheduling 0
		.amdhsa_exception_fp_ieee_invalid_op 0
		.amdhsa_exception_fp_denorm_src 0
		.amdhsa_exception_fp_ieee_div_zero 0
		.amdhsa_exception_fp_ieee_overflow 0
		.amdhsa_exception_fp_ieee_underflow 0
		.amdhsa_exception_fp_ieee_inexact 0
		.amdhsa_exception_int_div_zero 0
	.end_amdhsa_kernel
	.section	.text._ZL10tri_kernelIfLb1ELi1EEvPKT_PS0_llllllllllll,"axG",@progbits,_ZL10tri_kernelIfLb1ELi1EEvPKT_PS0_llllllllllll,comdat
.Lfunc_end1:
	.size	_ZL10tri_kernelIfLb1ELi1EEvPKT_PS0_llllllllllll, .Lfunc_end1-_ZL10tri_kernelIfLb1ELi1EEvPKT_PS0_llllllllllll
                                        ; -- End function
	.set _ZL10tri_kernelIfLb1ELi1EEvPKT_PS0_llllllllllll.num_vgpr, 12
	.set _ZL10tri_kernelIfLb1ELi1EEvPKT_PS0_llllllllllll.num_agpr, 0
	.set _ZL10tri_kernelIfLb1ELi1EEvPKT_PS0_llllllllllll.numbered_sgpr, 38
	.set _ZL10tri_kernelIfLb1ELi1EEvPKT_PS0_llllllllllll.num_named_barrier, 0
	.set _ZL10tri_kernelIfLb1ELi1EEvPKT_PS0_llllllllllll.private_seg_size, 0
	.set _ZL10tri_kernelIfLb1ELi1EEvPKT_PS0_llllllllllll.uses_vcc, 1
	.set _ZL10tri_kernelIfLb1ELi1EEvPKT_PS0_llllllllllll.uses_flat_scratch, 0
	.set _ZL10tri_kernelIfLb1ELi1EEvPKT_PS0_llllllllllll.has_dyn_sized_stack, 0
	.set _ZL10tri_kernelIfLb1ELi1EEvPKT_PS0_llllllllllll.has_recursion, 0
	.set _ZL10tri_kernelIfLb1ELi1EEvPKT_PS0_llllllllllll.has_indirect_call, 0
	.section	.AMDGPU.csdata,"",@progbits
; Kernel info:
; codeLenInByte = 904
; TotalNumSgprs: 40
; NumVgprs: 12
; ScratchSize: 0
; MemoryBound: 0
; FloatMode: 240
; IeeeMode: 1
; LDSByteSize: 0 bytes/workgroup (compile time only)
; SGPRBlocks: 0
; VGPRBlocks: 0
; NumSGPRsForWavesPerEU: 40
; NumVGPRsForWavesPerEU: 12
; NamedBarCnt: 0
; Occupancy: 16
; WaveLimiterHint : 0
; COMPUTE_PGM_RSRC2:SCRATCH_EN: 0
; COMPUTE_PGM_RSRC2:USER_SGPR: 2
; COMPUTE_PGM_RSRC2:TRAP_HANDLER: 0
; COMPUTE_PGM_RSRC2:TGID_X_EN: 1
; COMPUTE_PGM_RSRC2:TGID_Y_EN: 1
; COMPUTE_PGM_RSRC2:TGID_Z_EN: 1
; COMPUTE_PGM_RSRC2:TIDIG_COMP_CNT: 0
	.section	.text._ZL10tri_kernelIfLb0ELi0EEvPKT_PS0_llllllllllll,"axG",@progbits,_ZL10tri_kernelIfLb0ELi0EEvPKT_PS0_llllllllllll,comdat
	.globl	_ZL10tri_kernelIfLb0ELi0EEvPKT_PS0_llllllllllll ; -- Begin function _ZL10tri_kernelIfLb0ELi0EEvPKT_PS0_llllllllllll
	.p2align	8
	.type	_ZL10tri_kernelIfLb0ELi0EEvPKT_PS0_llllllllllll,@function
_ZL10tri_kernelIfLb0ELi0EEvPKT_PS0_llllllllllll: ; @_ZL10tri_kernelIfLb0ELi0EEvPKT_PS0_llllllllllll
; %bb.0:
	s_clause 0x1
	s_load_b128 s[12:15], s[0:1], 0x20
	s_load_b256 s[4:11], s[0:1], 0x0
	s_bfe_u32 s2, ttmp6, 0x4000c
	s_bfe_u32 s16, ttmp6, 0x40010
	s_add_co_i32 s2, s2, 1
	s_and_b32 s3, ttmp6, 15
	s_mul_i32 s2, ttmp9, s2
	s_and_b32 s18, ttmp7, 0xffff
	s_add_co_i32 s16, s16, 1
	s_bfe_u32 s17, ttmp6, 0x40014
	s_add_co_i32 s3, s3, s2
	s_mul_i32 s2, s18, s16
	s_bfe_u32 s16, ttmp6, 0x40004
	s_lshr_b32 s19, ttmp7, 16
	s_add_co_i32 s17, s17, 1
	s_add_co_i32 s2, s16, s2
	s_mul_i32 s16, s19, s17
	s_bfe_u32 s17, ttmp6, 0x40008
	s_getreg_b32 s20, hwreg(HW_REG_IB_STS2, 6, 4)
	s_add_co_i32 s16, s17, s16
	s_cmp_eq_u32 s20, 0
	s_mov_b32 s17, 0
	s_cselect_b32 s16, s19, s16
	s_cselect_b32 s18, s18, s2
	s_mov_b32 s19, s17
	s_cselect_b32 s2, ttmp9, s3
	s_mov_b32 s3, s17
	s_wait_kmcnt 0x0
	v_cmp_le_i64_e64 s14, s[14:15], s[16:17]
	v_cmp_le_i64_e64 s12, s[12:13], s[18:19]
	;; [unrolled: 1-line block ×3, first 2 shown]
	s_or_b32 s11, s12, s14
	s_delay_alu instid0(SALU_CYCLE_1) | instskip(NEXT) | instid1(SALU_CYCLE_1)
	s_or_b32 s10, s10, s11
	s_and_b32 vcc_lo, exec_lo, s10
	s_cbranch_vccnz .LBB2_12
; %bb.1:
	s_clause 0x1
	s_load_b128 s[12:15], s[0:1], 0x58
	s_load_b64 s[20:21], s[0:1], 0x68
	v_mov_b32_e32 v1, 0
	s_mov_b32 s24, exec_lo
	s_wait_kmcnt 0x0
	s_mul_u64 s[10:11], s[14:15], s[18:19]
	s_mul_u64 s[14:15], s[20:21], s[16:17]
	v_cmpx_gt_u32_e64 s2, v0
	s_cbranch_execz .LBB2_9
; %bb.2:
	v_dual_mov_b32 v3, v1 :: v_dual_add_nc_u32 v2, 1, v0
	s_load_b32 s20, s[0:1], 0x7c
	v_mov_b64_e32 v[4:5], v[0:1]
	s_mul_u64 s[22:23], s[12:13], s[2:3]
	s_mov_b32 s25, -1
	v_max_u64 v[2:3], v[2:3], s[2:3]
	s_wait_kmcnt 0x0
	s_and_b32 s20, s20, 0xffff
	s_delay_alu instid0(SALU_CYCLE_1) | instskip(SKIP_1) | instid1(VALU_DEP_1)
	s_cmp_eq_u32 s20, 1
	s_cselect_b32 s21, -1, 0
	v_sub_nc_u64_e32 v[2:3], v[2:3], v[0:1]
	s_delay_alu instid0(VALU_DEP_1) | instskip(SKIP_1) | instid1(SALU_CYCLE_1)
	v_cmp_lt_u64_e32 vcc_lo, 1, v[2:3]
	s_and_b32 s26, vcc_lo, s21
	s_and_saveexec_b32 s21, s26
	s_cbranch_execz .LBB2_6
; %bb.3:
	s_lshl_b64 s[26:27], s[22:23], 2
	s_lshl_b64 s[28:29], s[10:11], 2
	s_add_nc_u64 s[26:27], s[6:7], s[26:27]
	v_dual_mov_b32 v7, 0 :: v_dual_lshlrev_b32 v6, 2, v0
	v_dual_mov_b32 v5, v3 :: v_dual_bitop2_b32 v4, -2, v2 bitop3:0x40
	s_lshl_b64 s[30:31], s[14:15], 2
	s_add_nc_u64 s[26:27], s[26:27], s[28:29]
	v_mov_b64_e32 v[8:9], 0
	s_add_nc_u64 s[26:27], s[26:27], s[30:31]
	v_mov_b64_e32 v[10:11], v[4:5]
	v_add_nc_u64_e32 v[6:7], s[26:27], v[6:7]
	s_mov_b32 s25, 0
.LBB2_4:                                ; =>This Inner Loop Header: Depth=1
	s_delay_alu instid0(VALU_DEP_2)
	v_add_nc_u64_e32 v[10:11], -2, v[10:11]
	global_store_b64 v[6:7], v[8:9], off
	s_wait_xcnt 0x0
	v_add_nc_u64_e32 v[6:7], 8, v[6:7]
	v_cmp_eq_u64_e32 vcc_lo, 0, v[10:11]
	s_or_b32 s25, vcc_lo, s25
	s_delay_alu instid0(SALU_CYCLE_1)
	s_and_not1_b32 exec_lo, exec_lo, s25
	s_cbranch_execnz .LBB2_4
; %bb.5:
	s_or_b32 exec_lo, exec_lo, s25
	v_cmp_ne_u64_e32 vcc_lo, v[2:3], v[4:5]
	v_add_nc_u64_e32 v[4:5], v[4:5], v[0:1]
	s_or_not1_b32 s25, vcc_lo, exec_lo
.LBB2_6:
	s_or_b32 exec_lo, exec_lo, s21
	s_delay_alu instid0(SALU_CYCLE_1)
	s_and_b32 exec_lo, exec_lo, s25
	s_cbranch_execz .LBB2_9
; %bb.7:
	s_lshl_b64 s[26:27], s[14:15], 2
	s_lshl_b64 s[28:29], s[10:11], 2
	;; [unrolled: 1-line block ×3, first 2 shown]
	s_add_nc_u64 s[26:27], s[26:27], s[28:29]
	v_mov_b32_e32 v6, 0
	s_add_nc_u64 s[22:23], s[26:27], s[22:23]
	s_mov_b32 s21, 0
	s_add_nc_u64 s[22:23], s[6:7], s[22:23]
	s_mov_b32 s25, s21
	v_lshl_add_u64 v[2:3], v[4:5], 2, s[22:23]
	s_lshl_b32 s22, s20, 2
	s_mov_b32 s23, s21
.LBB2_8:                                ; =>This Inner Loop Header: Depth=1
	v_add_nc_u64_e32 v[4:5], s[20:21], v[4:5]
	global_store_b32 v[2:3], v6, off
	s_wait_xcnt 0x0
	v_add_nc_u64_e32 v[2:3], s[22:23], v[2:3]
	v_cmp_le_u64_e32 vcc_lo, s[2:3], v[4:5]
	s_or_b32 s25, vcc_lo, s25
	s_delay_alu instid0(SALU_CYCLE_1)
	s_and_not1_b32 exec_lo, exec_lo, s25
	s_cbranch_execnz .LBB2_8
.LBB2_9:
	s_or_b32 exec_lo, exec_lo, s24
	v_add_nc_u64_e32 v[2:3], s[2:3], v[0:1]
	s_mov_b32 s20, exec_lo
	s_delay_alu instid0(VALU_DEP_1)
	v_cmpx_gt_i64_e64 s[8:9], v[2:3]
	s_cbranch_execz .LBB2_12
; %bb.10:
	s_clause 0x2
	s_load_b32 s26, s[0:1], 0x7c
	s_load_b64 s[24:25], s[0:1], 0x48
	s_load_b128 s[20:23], s[0:1], 0x38
	s_wait_xcnt 0x0
	s_lshl_b64 s[0:1], s[14:15], 2
	s_lshl_b64 s[12:13], s[12:13], 2
	;; [unrolled: 1-line block ×3, first 2 shown]
	s_add_nc_u64 s[12:13], s[12:13], 4
	s_add_nc_u64 s[10:11], s[0:1], s[10:11]
	s_mul_u64 s[12:13], s[12:13], s[2:3]
	v_dual_mov_b32 v5, 0 :: v_dual_lshlrev_b32 v4, 2, v0
	s_add_nc_u64 s[10:11], s[10:11], s[12:13]
	s_mov_b32 s1, 0
	s_add_nc_u64 s[6:7], s[6:7], s[10:11]
	s_delay_alu instid0(VALU_DEP_1) | instid1(SALU_CYCLE_1)
	v_add_nc_u64_e32 v[0:1], s[6:7], v[4:5]
	s_mov_b32 s6, s1
	s_wait_kmcnt 0x0
	s_and_b32 s0, s26, 0xffff
	s_mul_u64 s[14:15], s[24:25], s[16:17]
	s_mul_u64 s[16:17], s[22:23], s[18:19]
	s_lshl_b64 s[18:19], s[20:21], 2
	s_lshl_b64 s[14:15], s[14:15], 2
	;; [unrolled: 1-line block ×3, first 2 shown]
	s_add_nc_u64 s[18:19], s[18:19], 4
	s_add_nc_u64 s[14:15], s[14:15], s[16:17]
	s_mul_u64 s[2:3], s[18:19], s[2:3]
	s_delay_alu instid0(SALU_CYCLE_1) | instskip(NEXT) | instid1(SALU_CYCLE_1)
	s_add_nc_u64 s[2:3], s[14:15], s[2:3]
	s_add_nc_u64 s[2:3], s[4:5], s[2:3]
	s_mov_b64 s[4:5], 0
	v_add_nc_u64_e32 v[4:5], s[2:3], v[4:5]
	s_lshl_b32 s2, s0, 2
	s_mov_b32 s3, s1
.LBB2_11:                               ; =>This Inner Loop Header: Depth=1
	s_delay_alu instid0(VALU_DEP_1)
	v_add_nc_u64_e32 v[6:7], s[4:5], v[4:5]
	v_add_nc_u64_e32 v[2:3], s[0:1], v[2:3]
	global_load_b32 v8, v[6:7], off
	v_cmp_le_i64_e32 vcc_lo, s[8:9], v[2:3]
	s_wait_xcnt 0x0
	v_add_nc_u64_e32 v[6:7], s[4:5], v[0:1]
	s_add_nc_u64 s[4:5], s[4:5], s[2:3]
	s_or_b32 s6, vcc_lo, s6
	s_wait_loadcnt 0x0
	global_store_b32 v[6:7], v8, off
	s_wait_xcnt 0x0
	s_and_not1_b32 exec_lo, exec_lo, s6
	s_cbranch_execnz .LBB2_11
.LBB2_12:
	s_endpgm
	.section	.rodata,"a",@progbits
	.p2align	6, 0x0
	.amdhsa_kernel _ZL10tri_kernelIfLb0ELi0EEvPKT_PS0_llllllllllll
		.amdhsa_group_segment_fixed_size 0
		.amdhsa_private_segment_fixed_size 0
		.amdhsa_kernarg_size 368
		.amdhsa_user_sgpr_count 2
		.amdhsa_user_sgpr_dispatch_ptr 0
		.amdhsa_user_sgpr_queue_ptr 0
		.amdhsa_user_sgpr_kernarg_segment_ptr 1
		.amdhsa_user_sgpr_dispatch_id 0
		.amdhsa_user_sgpr_kernarg_preload_length 0
		.amdhsa_user_sgpr_kernarg_preload_offset 0
		.amdhsa_user_sgpr_private_segment_size 0
		.amdhsa_wavefront_size32 1
		.amdhsa_uses_dynamic_stack 0
		.amdhsa_enable_private_segment 0
		.amdhsa_system_sgpr_workgroup_id_x 1
		.amdhsa_system_sgpr_workgroup_id_y 1
		.amdhsa_system_sgpr_workgroup_id_z 1
		.amdhsa_system_sgpr_workgroup_info 0
		.amdhsa_system_vgpr_workitem_id 0
		.amdhsa_next_free_vgpr 12
		.amdhsa_next_free_sgpr 32
		.amdhsa_named_barrier_count 0
		.amdhsa_reserve_vcc 1
		.amdhsa_float_round_mode_32 0
		.amdhsa_float_round_mode_16_64 0
		.amdhsa_float_denorm_mode_32 3
		.amdhsa_float_denorm_mode_16_64 3
		.amdhsa_fp16_overflow 0
		.amdhsa_memory_ordered 1
		.amdhsa_forward_progress 1
		.amdhsa_inst_pref_size 7
		.amdhsa_round_robin_scheduling 0
		.amdhsa_exception_fp_ieee_invalid_op 0
		.amdhsa_exception_fp_denorm_src 0
		.amdhsa_exception_fp_ieee_div_zero 0
		.amdhsa_exception_fp_ieee_overflow 0
		.amdhsa_exception_fp_ieee_underflow 0
		.amdhsa_exception_fp_ieee_inexact 0
		.amdhsa_exception_int_div_zero 0
	.end_amdhsa_kernel
	.section	.text._ZL10tri_kernelIfLb0ELi0EEvPKT_PS0_llllllllllll,"axG",@progbits,_ZL10tri_kernelIfLb0ELi0EEvPKT_PS0_llllllllllll,comdat
.Lfunc_end2:
	.size	_ZL10tri_kernelIfLb0ELi0EEvPKT_PS0_llllllllllll, .Lfunc_end2-_ZL10tri_kernelIfLb0ELi0EEvPKT_PS0_llllllllllll
                                        ; -- End function
	.set _ZL10tri_kernelIfLb0ELi0EEvPKT_PS0_llllllllllll.num_vgpr, 12
	.set _ZL10tri_kernelIfLb0ELi0EEvPKT_PS0_llllllllllll.num_agpr, 0
	.set _ZL10tri_kernelIfLb0ELi0EEvPKT_PS0_llllllllllll.numbered_sgpr, 32
	.set _ZL10tri_kernelIfLb0ELi0EEvPKT_PS0_llllllllllll.num_named_barrier, 0
	.set _ZL10tri_kernelIfLb0ELi0EEvPKT_PS0_llllllllllll.private_seg_size, 0
	.set _ZL10tri_kernelIfLb0ELi0EEvPKT_PS0_llllllllllll.uses_vcc, 1
	.set _ZL10tri_kernelIfLb0ELi0EEvPKT_PS0_llllllllllll.uses_flat_scratch, 0
	.set _ZL10tri_kernelIfLb0ELi0EEvPKT_PS0_llllllllllll.has_dyn_sized_stack, 0
	.set _ZL10tri_kernelIfLb0ELi0EEvPKT_PS0_llllllllllll.has_recursion, 0
	.set _ZL10tri_kernelIfLb0ELi0EEvPKT_PS0_llllllllllll.has_indirect_call, 0
	.section	.AMDGPU.csdata,"",@progbits
; Kernel info:
; codeLenInByte = 828
; TotalNumSgprs: 34
; NumVgprs: 12
; ScratchSize: 0
; MemoryBound: 0
; FloatMode: 240
; IeeeMode: 1
; LDSByteSize: 0 bytes/workgroup (compile time only)
; SGPRBlocks: 0
; VGPRBlocks: 0
; NumSGPRsForWavesPerEU: 34
; NumVGPRsForWavesPerEU: 12
; NamedBarCnt: 0
; Occupancy: 16
; WaveLimiterHint : 0
; COMPUTE_PGM_RSRC2:SCRATCH_EN: 0
; COMPUTE_PGM_RSRC2:USER_SGPR: 2
; COMPUTE_PGM_RSRC2:TRAP_HANDLER: 0
; COMPUTE_PGM_RSRC2:TGID_X_EN: 1
; COMPUTE_PGM_RSRC2:TGID_Y_EN: 1
; COMPUTE_PGM_RSRC2:TGID_Z_EN: 1
; COMPUTE_PGM_RSRC2:TIDIG_COMP_CNT: 0
	.section	.text._ZL10tri_kernelIfLb0ELi1EEvPKT_PS0_llllllllllll,"axG",@progbits,_ZL10tri_kernelIfLb0ELi1EEvPKT_PS0_llllllllllll,comdat
	.globl	_ZL10tri_kernelIfLb0ELi1EEvPKT_PS0_llllllllllll ; -- Begin function _ZL10tri_kernelIfLb0ELi1EEvPKT_PS0_llllllllllll
	.p2align	8
	.type	_ZL10tri_kernelIfLb0ELi1EEvPKT_PS0_llllllllllll,@function
_ZL10tri_kernelIfLb0ELi1EEvPKT_PS0_llllllllllll: ; @_ZL10tri_kernelIfLb0ELi1EEvPKT_PS0_llllllllllll
; %bb.0:
	s_clause 0x1
	s_load_b128 s[12:15], s[0:1], 0x20
	s_load_b256 s[4:11], s[0:1], 0x0
	s_bfe_u32 s2, ttmp6, 0x4000c
	s_bfe_u32 s16, ttmp6, 0x40010
	s_add_co_i32 s2, s2, 1
	s_and_b32 s3, ttmp6, 15
	s_mul_i32 s2, ttmp9, s2
	s_and_b32 s18, ttmp7, 0xffff
	s_add_co_i32 s16, s16, 1
	s_bfe_u32 s17, ttmp6, 0x40014
	s_add_co_i32 s3, s3, s2
	s_mul_i32 s2, s18, s16
	s_bfe_u32 s16, ttmp6, 0x40004
	s_lshr_b32 s19, ttmp7, 16
	s_add_co_i32 s17, s17, 1
	s_add_co_i32 s2, s16, s2
	s_mul_i32 s16, s19, s17
	s_bfe_u32 s17, ttmp6, 0x40008
	s_getreg_b32 s20, hwreg(HW_REG_IB_STS2, 6, 4)
	s_add_co_i32 s16, s17, s16
	s_cmp_eq_u32 s20, 0
	s_mov_b32 s17, 0
	s_cselect_b32 s16, s19, s16
	s_cselect_b32 s18, s18, s2
	s_mov_b32 s19, s17
	s_cselect_b32 s2, ttmp9, s3
	s_mov_b32 s3, s17
	s_wait_kmcnt 0x0
	v_cmp_le_i64_e64 s14, s[14:15], s[16:17]
	v_cmp_le_i64_e64 s12, s[12:13], s[18:19]
	;; [unrolled: 1-line block ×3, first 2 shown]
	s_or_b32 s11, s12, s14
	s_delay_alu instid0(SALU_CYCLE_1) | instskip(NEXT) | instid1(SALU_CYCLE_1)
	s_or_b32 s10, s10, s11
	s_and_b32 vcc_lo, exec_lo, s10
	s_cbranch_vccnz .LBB3_12
; %bb.1:
	s_clause 0x1
	s_load_b128 s[12:15], s[0:1], 0x58
	s_load_b64 s[22:23], s[0:1], 0x68
	v_mov_b32_e32 v1, 0
	s_add_nc_u64 s[20:21], s[2:3], 1
	s_mov_b32 s26, exec_lo
	s_wait_kmcnt 0x0
	s_mul_u64 s[10:11], s[14:15], s[18:19]
	s_mul_u64 s[14:15], s[22:23], s[16:17]
	v_cmpx_ge_u32_e64 s2, v0
	s_cbranch_execz .LBB3_9
; %bb.2:
	s_load_b32 s22, s[0:1], 0x7c
	v_sub_nc_u64_e32 v[2:3], s[20:21], v[0:1]
	v_mov_b64_e32 v[4:5], v[0:1]
	s_mul_u64 s[24:25], s[12:13], s[2:3]
	s_mov_b32 s27, -1
	s_delay_alu instid0(VALU_DEP_2) | instskip(SKIP_2) | instid1(SALU_CYCLE_1)
	v_cmp_lt_u64_e32 vcc_lo, 1, v[2:3]
	s_wait_kmcnt 0x0
	s_and_b32 s22, s22, 0xffff
	s_cmp_eq_u32 s22, 1
	s_cselect_b32 s23, -1, 0
	s_delay_alu instid0(SALU_CYCLE_1) | instskip(NEXT) | instid1(SALU_CYCLE_1)
	s_and_b32 s28, vcc_lo, s23
	s_and_saveexec_b32 s23, s28
	s_cbranch_execz .LBB3_6
; %bb.3:
	s_lshl_b64 s[28:29], s[24:25], 2
	s_lshl_b64 s[30:31], s[10:11], 2
	s_add_nc_u64 s[28:29], s[6:7], s[28:29]
	v_dual_mov_b32 v7, 0 :: v_dual_lshlrev_b32 v6, 2, v0
	v_dual_mov_b32 v5, v3 :: v_dual_bitop2_b32 v4, -2, v2 bitop3:0x40
	s_lshl_b64 s[34:35], s[14:15], 2
	s_add_nc_u64 s[28:29], s[28:29], s[30:31]
	v_mov_b64_e32 v[8:9], 0
	s_add_nc_u64 s[28:29], s[28:29], s[34:35]
	v_mov_b64_e32 v[10:11], v[4:5]
	v_add_nc_u64_e32 v[6:7], s[28:29], v[6:7]
	s_mov_b32 s27, 0
.LBB3_4:                                ; =>This Inner Loop Header: Depth=1
	s_delay_alu instid0(VALU_DEP_2)
	v_add_nc_u64_e32 v[10:11], -2, v[10:11]
	global_store_b64 v[6:7], v[8:9], off
	s_wait_xcnt 0x0
	v_add_nc_u64_e32 v[6:7], 8, v[6:7]
	v_cmp_eq_u64_e32 vcc_lo, 0, v[10:11]
	s_or_b32 s27, vcc_lo, s27
	s_delay_alu instid0(SALU_CYCLE_1)
	s_and_not1_b32 exec_lo, exec_lo, s27
	s_cbranch_execnz .LBB3_4
; %bb.5:
	s_or_b32 exec_lo, exec_lo, s27
	v_cmp_ne_u64_e32 vcc_lo, v[2:3], v[4:5]
	v_add_nc_u64_e32 v[4:5], v[4:5], v[0:1]
	s_or_not1_b32 s27, vcc_lo, exec_lo
.LBB3_6:
	s_or_b32 exec_lo, exec_lo, s23
	s_delay_alu instid0(SALU_CYCLE_1)
	s_and_b32 exec_lo, exec_lo, s27
	s_cbranch_execz .LBB3_9
; %bb.7:
	s_lshl_b64 s[28:29], s[14:15], 2
	s_lshl_b64 s[30:31], s[10:11], 2
	;; [unrolled: 1-line block ×3, first 2 shown]
	s_add_nc_u64 s[28:29], s[28:29], s[30:31]
	v_mov_b32_e32 v6, 0
	s_add_nc_u64 s[24:25], s[28:29], s[24:25]
	s_mov_b32 s23, 0
	s_add_nc_u64 s[24:25], s[6:7], s[24:25]
	s_mov_b32 s27, s23
	v_lshl_add_u64 v[2:3], v[4:5], 2, s[24:25]
	s_lshl_b32 s24, s22, 2
	s_mov_b32 s25, s23
.LBB3_8:                                ; =>This Inner Loop Header: Depth=1
	v_add_nc_u64_e32 v[4:5], s[22:23], v[4:5]
	global_store_b32 v[2:3], v6, off
	s_wait_xcnt 0x0
	v_add_nc_u64_e32 v[2:3], s[24:25], v[2:3]
	v_cmp_lt_u64_e32 vcc_lo, s[2:3], v[4:5]
	s_or_b32 s27, vcc_lo, s27
	s_delay_alu instid0(SALU_CYCLE_1)
	s_and_not1_b32 exec_lo, exec_lo, s27
	s_cbranch_execnz .LBB3_8
.LBB3_9:
	s_or_b32 exec_lo, exec_lo, s26
	v_add_nc_u64_e32 v[2:3], s[20:21], v[0:1]
	s_mov_b32 s20, exec_lo
	s_delay_alu instid0(VALU_DEP_1)
	v_cmpx_gt_i64_e64 s[8:9], v[2:3]
	s_cbranch_execz .LBB3_12
; %bb.10:
	s_clause 0x2
	s_load_b128 s[20:23], s[0:1], 0x38
	s_load_b64 s[24:25], s[0:1], 0x48
	s_load_b32 s26, s[0:1], 0x7c
	s_wait_xcnt 0x0
	s_add_nc_u64 s[0:1], s[12:13], 1
	s_add_nc_u64 s[10:11], s[14:15], s[10:11]
	s_mul_u64 s[0:1], s[0:1], s[2:3]
	s_delay_alu instid0(SALU_CYCLE_1) | instskip(NEXT) | instid1(SALU_CYCLE_1)
	s_add_nc_u64 s[0:1], s[10:11], s[0:1]
	v_add_nc_u64_e32 v[4:5], s[0:1], v[0:1]
	s_wait_kmcnt 0x0
	s_mul_u64 s[10:11], s[22:23], s[18:19]
	s_mul_u64 s[12:13], s[24:25], s[16:17]
	s_add_nc_u64 s[14:15], s[20:21], 1
	s_add_nc_u64 s[10:11], s[12:13], s[10:11]
	s_mul_u64 s[2:3], s[14:15], s[2:3]
	s_delay_alu instid0(SALU_CYCLE_1) | instskip(NEXT) | instid1(SALU_CYCLE_1)
	s_add_nc_u64 s[0:1], s[10:11], s[2:3]
	v_add_nc_u64_e32 v[6:7], s[0:1], v[0:1]
	v_lshl_add_u64 v[0:1], v[4:5], 2, s[6:7]
	s_and_b32 s0, s26, 0xffff
	s_mov_b32 s1, 0
	s_lshl_b32 s2, s0, 2
	s_mov_b32 s3, s1
	s_mov_b32 s6, s1
	v_lshl_add_u64 v[4:5], v[6:7], 2, s[4:5]
	s_mov_b64 s[4:5], 4
.LBB3_11:                               ; =>This Inner Loop Header: Depth=1
	s_delay_alu instid0(VALU_DEP_1) | instid1(SALU_CYCLE_1)
	v_add_nc_u64_e32 v[6:7], s[4:5], v[4:5]
	v_add_nc_u64_e32 v[2:3], s[0:1], v[2:3]
	global_load_b32 v8, v[6:7], off
	v_cmp_le_i64_e32 vcc_lo, s[8:9], v[2:3]
	s_wait_xcnt 0x0
	v_add_nc_u64_e32 v[6:7], s[4:5], v[0:1]
	s_add_nc_u64 s[4:5], s[4:5], s[2:3]
	s_or_b32 s6, vcc_lo, s6
	s_wait_loadcnt 0x0
	global_store_b32 v[6:7], v8, off
	s_wait_xcnt 0x0
	s_and_not1_b32 exec_lo, exec_lo, s6
	s_cbranch_execnz .LBB3_11
.LBB3_12:
	s_endpgm
	.section	.rodata,"a",@progbits
	.p2align	6, 0x0
	.amdhsa_kernel _ZL10tri_kernelIfLb0ELi1EEvPKT_PS0_llllllllllll
		.amdhsa_group_segment_fixed_size 0
		.amdhsa_private_segment_fixed_size 0
		.amdhsa_kernarg_size 368
		.amdhsa_user_sgpr_count 2
		.amdhsa_user_sgpr_dispatch_ptr 0
		.amdhsa_user_sgpr_queue_ptr 0
		.amdhsa_user_sgpr_kernarg_segment_ptr 1
		.amdhsa_user_sgpr_dispatch_id 0
		.amdhsa_user_sgpr_kernarg_preload_length 0
		.amdhsa_user_sgpr_kernarg_preload_offset 0
		.amdhsa_user_sgpr_private_segment_size 0
		.amdhsa_wavefront_size32 1
		.amdhsa_uses_dynamic_stack 0
		.amdhsa_enable_private_segment 0
		.amdhsa_system_sgpr_workgroup_id_x 1
		.amdhsa_system_sgpr_workgroup_id_y 1
		.amdhsa_system_sgpr_workgroup_id_z 1
		.amdhsa_system_sgpr_workgroup_info 0
		.amdhsa_system_vgpr_workitem_id 0
		.amdhsa_next_free_vgpr 12
		.amdhsa_next_free_sgpr 36
		.amdhsa_named_barrier_count 0
		.amdhsa_reserve_vcc 1
		.amdhsa_float_round_mode_32 0
		.amdhsa_float_round_mode_16_64 0
		.amdhsa_float_denorm_mode_32 3
		.amdhsa_float_denorm_mode_16_64 3
		.amdhsa_fp16_overflow 0
		.amdhsa_memory_ordered 1
		.amdhsa_forward_progress 1
		.amdhsa_inst_pref_size 7
		.amdhsa_round_robin_scheduling 0
		.amdhsa_exception_fp_ieee_invalid_op 0
		.amdhsa_exception_fp_denorm_src 0
		.amdhsa_exception_fp_ieee_div_zero 0
		.amdhsa_exception_fp_ieee_overflow 0
		.amdhsa_exception_fp_ieee_underflow 0
		.amdhsa_exception_fp_ieee_inexact 0
		.amdhsa_exception_int_div_zero 0
	.end_amdhsa_kernel
	.section	.text._ZL10tri_kernelIfLb0ELi1EEvPKT_PS0_llllllllllll,"axG",@progbits,_ZL10tri_kernelIfLb0ELi1EEvPKT_PS0_llllllllllll,comdat
.Lfunc_end3:
	.size	_ZL10tri_kernelIfLb0ELi1EEvPKT_PS0_llllllllllll, .Lfunc_end3-_ZL10tri_kernelIfLb0ELi1EEvPKT_PS0_llllllllllll
                                        ; -- End function
	.set _ZL10tri_kernelIfLb0ELi1EEvPKT_PS0_llllllllllll.num_vgpr, 12
	.set _ZL10tri_kernelIfLb0ELi1EEvPKT_PS0_llllllllllll.num_agpr, 0
	.set _ZL10tri_kernelIfLb0ELi1EEvPKT_PS0_llllllllllll.numbered_sgpr, 36
	.set _ZL10tri_kernelIfLb0ELi1EEvPKT_PS0_llllllllllll.num_named_barrier, 0
	.set _ZL10tri_kernelIfLb0ELi1EEvPKT_PS0_llllllllllll.private_seg_size, 0
	.set _ZL10tri_kernelIfLb0ELi1EEvPKT_PS0_llllllllllll.uses_vcc, 1
	.set _ZL10tri_kernelIfLb0ELi1EEvPKT_PS0_llllllllllll.uses_flat_scratch, 0
	.set _ZL10tri_kernelIfLb0ELi1EEvPKT_PS0_llllllllllll.has_dyn_sized_stack, 0
	.set _ZL10tri_kernelIfLb0ELi1EEvPKT_PS0_llllllllllll.has_recursion, 0
	.set _ZL10tri_kernelIfLb0ELi1EEvPKT_PS0_llllllllllll.has_indirect_call, 0
	.section	.AMDGPU.csdata,"",@progbits
; Kernel info:
; codeLenInByte = 792
; TotalNumSgprs: 38
; NumVgprs: 12
; ScratchSize: 0
; MemoryBound: 0
; FloatMode: 240
; IeeeMode: 1
; LDSByteSize: 0 bytes/workgroup (compile time only)
; SGPRBlocks: 0
; VGPRBlocks: 0
; NumSGPRsForWavesPerEU: 38
; NumVGPRsForWavesPerEU: 12
; NamedBarCnt: 0
; Occupancy: 16
; WaveLimiterHint : 0
; COMPUTE_PGM_RSRC2:SCRATCH_EN: 0
; COMPUTE_PGM_RSRC2:USER_SGPR: 2
; COMPUTE_PGM_RSRC2:TRAP_HANDLER: 0
; COMPUTE_PGM_RSRC2:TGID_X_EN: 1
; COMPUTE_PGM_RSRC2:TGID_Y_EN: 1
; COMPUTE_PGM_RSRC2:TGID_Z_EN: 1
; COMPUTE_PGM_RSRC2:TIDIG_COMP_CNT: 0
	.section	.text._ZL10tri_kernelI6__halfLb1ELi0EEvPKT_PS1_llllllllllll,"axG",@progbits,_ZL10tri_kernelI6__halfLb1ELi0EEvPKT_PS1_llllllllllll,comdat
	.globl	_ZL10tri_kernelI6__halfLb1ELi0EEvPKT_PS1_llllllllllll ; -- Begin function _ZL10tri_kernelI6__halfLb1ELi0EEvPKT_PS1_llllllllllll
	.p2align	8
	.type	_ZL10tri_kernelI6__halfLb1ELi0EEvPKT_PS1_llllllllllll,@function
_ZL10tri_kernelI6__halfLb1ELi0EEvPKT_PS1_llllllllllll: ; @_ZL10tri_kernelI6__halfLb1ELi0EEvPKT_PS1_llllllllllll
; %bb.0:
	s_clause 0x1
	s_load_b128 s[20:23], s[0:1], 0x20
	s_load_b256 s[4:11], s[0:1], 0x0
	s_bfe_u32 s2, ttmp6, 0x4000c
	s_bfe_u32 s12, ttmp6, 0x40010
	s_add_co_i32 s2, s2, 1
	s_and_b32 s3, ttmp6, 15
	s_mul_i32 s2, ttmp9, s2
	s_and_b32 s13, ttmp7, 0xffff
	s_add_co_i32 s12, s12, 1
	s_bfe_u32 s14, ttmp6, 0x40014
	s_add_co_i32 s3, s3, s2
	s_mul_i32 s2, s13, s12
	s_bfe_u32 s12, ttmp6, 0x40004
	s_lshr_b32 s15, ttmp7, 16
	s_add_co_i32 s14, s14, 1
	s_add_co_i32 s12, s12, s2
	s_mul_i32 s2, s15, s14
	s_bfe_u32 s14, ttmp6, 0x40008
	s_getreg_b32 s16, hwreg(HW_REG_IB_STS2, 6, 4)
	s_add_co_i32 s14, s14, s2
	s_cmp_eq_u32 s16, 0
	s_mov_b32 s17, 0
	s_cselect_b32 s16, s15, s14
	s_cselect_b32 s18, s13, s12
	s_mov_b32 s19, s17
	s_cselect_b32 s14, ttmp9, s3
	s_mov_b32 s15, s17
	s_wait_kmcnt 0x0
	v_cmp_le_i64_e64 s2, s[22:23], s[16:17]
	v_cmp_le_i64_e64 s3, s[20:21], s[18:19]
	;; [unrolled: 1-line block ×3, first 2 shown]
	s_or_b32 s2, s3, s2
	s_delay_alu instid0(SALU_CYCLE_1) | instskip(NEXT) | instid1(SALU_CYCLE_1)
	s_or_b32 s2, s10, s2
	s_and_b32 vcc_lo, exec_lo, s2
	s_cbranch_vccnz .LBB4_12
; %bb.1:
	s_clause 0x1
	s_load_b128 s[20:23], s[0:1], 0x58
	s_load_b64 s[12:13], s[0:1], 0x68
	v_mov_b32_e32 v1, 0
	s_wait_kmcnt 0x0
	s_mul_u64 s[2:3], s[20:21], s[14:15]
	s_mul_u64 s[10:11], s[22:23], s[18:19]
	;; [unrolled: 1-line block ×3, first 2 shown]
	s_mov_b32 s22, exec_lo
	v_cmpx_gt_u32_e64 s14, v0
	s_cbranch_execz .LBB4_4
; %bb.2:
	s_clause 0x2
	s_load_b32 s20, s[0:1], 0x7c
	s_load_b64 s[28:29], s[0:1], 0x48
	s_load_b128 s[24:27], s[0:1], 0x38
	s_lshl_b64 s[30:31], s[12:13], 1
	s_lshl_b64 s[34:35], s[10:11], 1
	;; [unrolled: 1-line block ×3, first 2 shown]
	s_add_nc_u64 s[30:31], s[30:31], s[34:35]
	v_dual_mov_b32 v5, v1 :: v_dual_lshlrev_b32 v4, 1, v0
	v_mov_b64_e32 v[6:7], v[0:1]
	s_mov_b32 s21, 0
	s_wait_kmcnt 0x0
	s_and_b32 s20, s20, 0xffff
	s_mul_u64 s[16:17], s[28:29], s[16:17]
	s_mul_u64 s[18:19], s[26:27], s[18:19]
	s_lshl_b64 s[16:17], s[16:17], 1
	s_lshl_b64 s[18:19], s[18:19], 1
	s_mul_u64 s[24:25], s[24:25], s[14:15]
	s_add_nc_u64 s[16:17], s[16:17], s[18:19]
	s_lshl_b64 s[18:19], s[24:25], 1
	s_add_nc_u64 s[24:25], s[30:31], s[36:37]
	s_add_nc_u64 s[16:17], s[16:17], s[18:19]
	;; [unrolled: 1-line block ×4, first 2 shown]
	v_add_nc_u64_e32 v[2:3], s[18:19], v[4:5]
	v_add_nc_u64_e32 v[4:5], s[4:5], v[4:5]
	s_lshl_b32 s4, s20, 1
	s_mov_b32 s5, s21
	s_mov_b64 s[16:17], 0
	s_mov_b32 s18, s21
.LBB4_3:                                ; =>This Inner Loop Header: Depth=1
	s_delay_alu instid0(VALU_DEP_1)
	v_add_nc_u64_e32 v[8:9], s[16:17], v[4:5]
	v_add_nc_u64_e32 v[6:7], s[20:21], v[6:7]
	global_load_u16 v10, v[8:9], off
	v_cmp_le_u64_e32 vcc_lo, s[14:15], v[6:7]
	s_wait_xcnt 0x0
	v_add_nc_u64_e32 v[8:9], s[16:17], v[2:3]
	s_add_nc_u64 s[16:17], s[16:17], s[4:5]
	s_or_b32 s18, vcc_lo, s18
	s_wait_loadcnt 0x0
	global_store_b16 v[8:9], v10, off
	s_wait_xcnt 0x0
	s_and_not1_b32 exec_lo, exec_lo, s18
	s_cbranch_execnz .LBB4_3
.LBB4_4:
	s_or_b32 exec_lo, exec_lo, s22
	v_add_nc_u64_e32 v[0:1], s[14:15], v[0:1]
	s_mov_b32 s4, exec_lo
	s_delay_alu instid0(VALU_DEP_1)
	v_cmpx_gt_i64_e64 s[8:9], v[0:1]
	s_cbranch_execz .LBB4_12
; %bb.5:
	v_add_nc_u64_e32 v[2:3], 1, v[0:1]
	s_load_b32 s0, s[0:1], 0x7c
	s_mov_b32 s4, -1
	s_delay_alu instid0(VALU_DEP_1) | instskip(SKIP_2) | instid1(SALU_CYCLE_1)
	v_max_i64 v[2:3], s[8:9], v[2:3]
	s_wait_kmcnt 0x0
	s_and_b32 s0, s0, 0xffff
	s_cmp_eq_u32 s0, 1
	s_cselect_b32 s1, -1, 0
	s_delay_alu instid0(VALU_DEP_1) | instskip(NEXT) | instid1(VALU_DEP_1)
	v_sub_nc_u64_e32 v[2:3], v[2:3], v[0:1]
	v_cmp_lt_u64_e32 vcc_lo, 3, v[2:3]
	s_and_b32 s5, vcc_lo, s1
	s_delay_alu instid0(SALU_CYCLE_1)
	s_and_saveexec_b32 s1, s5
	s_cbranch_execz .LBB4_9
; %bb.6:
	s_lshl_b64 s[4:5], s[2:3], 1
	v_dual_mov_b32 v6, 0 :: v_dual_bitop2_b32 v4, -4, v2 bitop3:0x40
	v_mov_b32_e32 v5, v3
	s_lshl_b64 s[14:15], s[10:11], 1
	s_add_nc_u64 s[4:5], s[6:7], s[4:5]
	s_lshl_b64 s[16:17], s[12:13], 1
	s_add_nc_u64 s[4:5], s[4:5], s[14:15]
	v_mov_b32_e32 v7, v6
	s_add_nc_u64 s[4:5], s[4:5], s[16:17]
	v_mov_b64_e32 v[10:11], v[4:5]
	v_lshl_add_u64 v[8:9], v[0:1], 1, s[4:5]
	s_mov_b32 s4, 0
.LBB4_7:                                ; =>This Inner Loop Header: Depth=1
	s_delay_alu instid0(VALU_DEP_2)
	v_add_nc_u64_e32 v[10:11], -4, v[10:11]
	global_store_b64 v[8:9], v[6:7], off
	s_wait_xcnt 0x0
	v_add_nc_u64_e32 v[8:9], 8, v[8:9]
	v_cmp_eq_u64_e32 vcc_lo, 0, v[10:11]
	s_or_b32 s4, vcc_lo, s4
	s_delay_alu instid0(SALU_CYCLE_1)
	s_and_not1_b32 exec_lo, exec_lo, s4
	s_cbranch_execnz .LBB4_7
; %bb.8:
	s_or_b32 exec_lo, exec_lo, s4
	v_cmp_ne_u64_e32 vcc_lo, v[2:3], v[4:5]
	v_add_nc_u64_e32 v[0:1], v[0:1], v[4:5]
	s_or_not1_b32 s4, vcc_lo, exec_lo
.LBB4_9:
	s_or_b32 exec_lo, exec_lo, s1
	s_delay_alu instid0(SALU_CYCLE_1)
	s_and_b32 exec_lo, exec_lo, s4
	s_cbranch_execz .LBB4_12
; %bb.10:
	s_lshl_b64 s[4:5], s[12:13], 1
	s_lshl_b64 s[10:11], s[10:11], 1
	;; [unrolled: 1-line block ×3, first 2 shown]
	s_add_nc_u64 s[4:5], s[4:5], s[10:11]
	v_mov_b32_e32 v4, 0
	s_add_nc_u64 s[2:3], s[4:5], s[2:3]
	s_mov_b32 s1, 0
	s_add_nc_u64 s[2:3], s[6:7], s[2:3]
	s_mov_b32 s4, s1
	v_lshl_add_u64 v[2:3], v[0:1], 1, s[2:3]
	s_lshl_b32 s2, s0, 1
	s_mov_b32 s3, s1
.LBB4_11:                               ; =>This Inner Loop Header: Depth=1
	v_add_nc_u64_e32 v[0:1], s[0:1], v[0:1]
	global_store_b16 v[2:3], v4, off
	s_wait_xcnt 0x0
	v_add_nc_u64_e32 v[2:3], s[2:3], v[2:3]
	v_cmp_le_i64_e32 vcc_lo, s[8:9], v[0:1]
	s_or_b32 s4, vcc_lo, s4
	s_delay_alu instid0(SALU_CYCLE_1)
	s_and_not1_b32 exec_lo, exec_lo, s4
	s_cbranch_execnz .LBB4_11
.LBB4_12:
	s_endpgm
	.section	.rodata,"a",@progbits
	.p2align	6, 0x0
	.amdhsa_kernel _ZL10tri_kernelI6__halfLb1ELi0EEvPKT_PS1_llllllllllll
		.amdhsa_group_segment_fixed_size 0
		.amdhsa_private_segment_fixed_size 0
		.amdhsa_kernarg_size 368
		.amdhsa_user_sgpr_count 2
		.amdhsa_user_sgpr_dispatch_ptr 0
		.amdhsa_user_sgpr_queue_ptr 0
		.amdhsa_user_sgpr_kernarg_segment_ptr 1
		.amdhsa_user_sgpr_dispatch_id 0
		.amdhsa_user_sgpr_kernarg_preload_length 0
		.amdhsa_user_sgpr_kernarg_preload_offset 0
		.amdhsa_user_sgpr_private_segment_size 0
		.amdhsa_wavefront_size32 1
		.amdhsa_uses_dynamic_stack 0
		.amdhsa_enable_private_segment 0
		.amdhsa_system_sgpr_workgroup_id_x 1
		.amdhsa_system_sgpr_workgroup_id_y 1
		.amdhsa_system_sgpr_workgroup_id_z 1
		.amdhsa_system_sgpr_workgroup_info 0
		.amdhsa_system_vgpr_workitem_id 0
		.amdhsa_next_free_vgpr 12
		.amdhsa_next_free_sgpr 38
		.amdhsa_named_barrier_count 0
		.amdhsa_reserve_vcc 1
		.amdhsa_float_round_mode_32 0
		.amdhsa_float_round_mode_16_64 0
		.amdhsa_float_denorm_mode_32 3
		.amdhsa_float_denorm_mode_16_64 3
		.amdhsa_fp16_overflow 0
		.amdhsa_memory_ordered 1
		.amdhsa_forward_progress 1
		.amdhsa_inst_pref_size 7
		.amdhsa_round_robin_scheduling 0
		.amdhsa_exception_fp_ieee_invalid_op 0
		.amdhsa_exception_fp_denorm_src 0
		.amdhsa_exception_fp_ieee_div_zero 0
		.amdhsa_exception_fp_ieee_overflow 0
		.amdhsa_exception_fp_ieee_underflow 0
		.amdhsa_exception_fp_ieee_inexact 0
		.amdhsa_exception_int_div_zero 0
	.end_amdhsa_kernel
	.section	.text._ZL10tri_kernelI6__halfLb1ELi0EEvPKT_PS1_llllllllllll,"axG",@progbits,_ZL10tri_kernelI6__halfLb1ELi0EEvPKT_PS1_llllllllllll,comdat
.Lfunc_end4:
	.size	_ZL10tri_kernelI6__halfLb1ELi0EEvPKT_PS1_llllllllllll, .Lfunc_end4-_ZL10tri_kernelI6__halfLb1ELi0EEvPKT_PS1_llllllllllll
                                        ; -- End function
	.set _ZL10tri_kernelI6__halfLb1ELi0EEvPKT_PS1_llllllllllll.num_vgpr, 12
	.set _ZL10tri_kernelI6__halfLb1ELi0EEvPKT_PS1_llllllllllll.num_agpr, 0
	.set _ZL10tri_kernelI6__halfLb1ELi0EEvPKT_PS1_llllllllllll.numbered_sgpr, 38
	.set _ZL10tri_kernelI6__halfLb1ELi0EEvPKT_PS1_llllllllllll.num_named_barrier, 0
	.set _ZL10tri_kernelI6__halfLb1ELi0EEvPKT_PS1_llllllllllll.private_seg_size, 0
	.set _ZL10tri_kernelI6__halfLb1ELi0EEvPKT_PS1_llllllllllll.uses_vcc, 1
	.set _ZL10tri_kernelI6__halfLb1ELi0EEvPKT_PS1_llllllllllll.uses_flat_scratch, 0
	.set _ZL10tri_kernelI6__halfLb1ELi0EEvPKT_PS1_llllllllllll.has_dyn_sized_stack, 0
	.set _ZL10tri_kernelI6__halfLb1ELi0EEvPKT_PS1_llllllllllll.has_recursion, 0
	.set _ZL10tri_kernelI6__halfLb1ELi0EEvPKT_PS1_llllllllllll.has_indirect_call, 0
	.section	.AMDGPU.csdata,"",@progbits
; Kernel info:
; codeLenInByte = 804
; TotalNumSgprs: 40
; NumVgprs: 12
; ScratchSize: 0
; MemoryBound: 0
; FloatMode: 240
; IeeeMode: 1
; LDSByteSize: 0 bytes/workgroup (compile time only)
; SGPRBlocks: 0
; VGPRBlocks: 0
; NumSGPRsForWavesPerEU: 40
; NumVGPRsForWavesPerEU: 12
; NamedBarCnt: 0
; Occupancy: 16
; WaveLimiterHint : 0
; COMPUTE_PGM_RSRC2:SCRATCH_EN: 0
; COMPUTE_PGM_RSRC2:USER_SGPR: 2
; COMPUTE_PGM_RSRC2:TRAP_HANDLER: 0
; COMPUTE_PGM_RSRC2:TGID_X_EN: 1
; COMPUTE_PGM_RSRC2:TGID_Y_EN: 1
; COMPUTE_PGM_RSRC2:TGID_Z_EN: 1
; COMPUTE_PGM_RSRC2:TIDIG_COMP_CNT: 0
	.section	.text._ZL10tri_kernelI6__halfLb1ELi1EEvPKT_PS1_llllllllllll,"axG",@progbits,_ZL10tri_kernelI6__halfLb1ELi1EEvPKT_PS1_llllllllllll,comdat
	.globl	_ZL10tri_kernelI6__halfLb1ELi1EEvPKT_PS1_llllllllllll ; -- Begin function _ZL10tri_kernelI6__halfLb1ELi1EEvPKT_PS1_llllllllllll
	.p2align	8
	.type	_ZL10tri_kernelI6__halfLb1ELi1EEvPKT_PS1_llllllllllll,@function
_ZL10tri_kernelI6__halfLb1ELi1EEvPKT_PS1_llllllllllll: ; @_ZL10tri_kernelI6__halfLb1ELi1EEvPKT_PS1_llllllllllll
; %bb.0:
	s_clause 0x1
	s_load_b128 s[20:23], s[0:1], 0x20
	s_load_b256 s[4:11], s[0:1], 0x0
	s_bfe_u32 s2, ttmp6, 0x4000c
	s_bfe_u32 s12, ttmp6, 0x40010
	s_add_co_i32 s2, s2, 1
	s_and_b32 s3, ttmp6, 15
	s_mul_i32 s2, ttmp9, s2
	s_and_b32 s13, ttmp7, 0xffff
	s_add_co_i32 s12, s12, 1
	s_bfe_u32 s14, ttmp6, 0x40014
	s_add_co_i32 s3, s3, s2
	s_mul_i32 s2, s13, s12
	s_bfe_u32 s12, ttmp6, 0x40004
	s_lshr_b32 s15, ttmp7, 16
	s_add_co_i32 s14, s14, 1
	s_add_co_i32 s12, s12, s2
	s_mul_i32 s2, s15, s14
	s_bfe_u32 s14, ttmp6, 0x40008
	s_getreg_b32 s16, hwreg(HW_REG_IB_STS2, 6, 4)
	s_add_co_i32 s14, s14, s2
	s_cmp_eq_u32 s16, 0
	s_mov_b32 s17, 0
	s_cselect_b32 s16, s15, s14
	s_cselect_b32 s18, s13, s12
	s_mov_b32 s19, s17
	s_cselect_b32 s14, ttmp9, s3
	s_mov_b32 s15, s17
	s_wait_kmcnt 0x0
	v_cmp_le_i64_e64 s2, s[22:23], s[16:17]
	v_cmp_le_i64_e64 s3, s[20:21], s[18:19]
	;; [unrolled: 1-line block ×3, first 2 shown]
	s_or_b32 s2, s3, s2
	s_delay_alu instid0(SALU_CYCLE_1) | instskip(NEXT) | instid1(SALU_CYCLE_1)
	s_or_b32 s2, s10, s2
	s_and_b32 vcc_lo, exec_lo, s2
	s_cbranch_vccnz .LBB5_14
; %bb.1:
	s_clause 0x1
	s_load_b64 s[2:3], s[0:1], 0x68
	s_load_b128 s[20:23], s[0:1], 0x58
	v_mov_b32_e32 v1, 0
	s_wait_kmcnt 0x0
	s_mul_u64 s[10:11], s[2:3], s[16:17]
	s_mul_u64 s[12:13], s[22:23], s[18:19]
	;; [unrolled: 1-line block ×3, first 2 shown]
	s_mov_b32 s22, exec_lo
	v_cmpx_ge_u32_e64 s14, v0
	s_cbranch_execz .LBB5_4
; %bb.2:
	s_clause 0x2
	s_load_b32 s20, s[0:1], 0x7c
	s_load_b64 s[28:29], s[0:1], 0x48
	s_load_b128 s[24:27], s[0:1], 0x38
	s_lshl_b64 s[30:31], s[10:11], 1
	s_lshl_b64 s[34:35], s[12:13], 1
	s_lshl_b64 s[36:37], s[2:3], 1
	s_add_nc_u64 s[30:31], s[30:31], s[34:35]
	v_dual_mov_b32 v5, v1 :: v_dual_lshlrev_b32 v4, 1, v0
	v_mov_b64_e32 v[6:7], v[0:1]
	s_mov_b32 s21, 0
	s_wait_kmcnt 0x0
	s_and_b32 s20, s20, 0xffff
	s_mul_u64 s[16:17], s[28:29], s[16:17]
	s_mul_u64 s[18:19], s[26:27], s[18:19]
	s_lshl_b64 s[16:17], s[16:17], 1
	s_lshl_b64 s[18:19], s[18:19], 1
	s_mul_u64 s[24:25], s[24:25], s[14:15]
	s_add_nc_u64 s[16:17], s[16:17], s[18:19]
	s_lshl_b64 s[18:19], s[24:25], 1
	s_add_nc_u64 s[24:25], s[30:31], s[36:37]
	s_add_nc_u64 s[16:17], s[16:17], s[18:19]
	;; [unrolled: 1-line block ×4, first 2 shown]
	v_add_nc_u64_e32 v[2:3], s[18:19], v[4:5]
	v_add_nc_u64_e32 v[4:5], s[4:5], v[4:5]
	s_lshl_b32 s4, s20, 1
	s_mov_b32 s5, s21
	s_mov_b64 s[16:17], 0
	s_mov_b32 s18, s21
.LBB5_3:                                ; =>This Inner Loop Header: Depth=1
	s_delay_alu instid0(VALU_DEP_1)
	v_add_nc_u64_e32 v[8:9], s[16:17], v[4:5]
	v_add_nc_u64_e32 v[6:7], s[20:21], v[6:7]
	global_load_u16 v10, v[8:9], off
	v_cmp_lt_u64_e32 vcc_lo, s[14:15], v[6:7]
	s_wait_xcnt 0x0
	v_add_nc_u64_e32 v[8:9], s[16:17], v[2:3]
	s_add_nc_u64 s[16:17], s[16:17], s[4:5]
	s_or_b32 s18, vcc_lo, s18
	s_wait_loadcnt 0x0
	global_store_b16 v[8:9], v10, off
	s_wait_xcnt 0x0
	s_and_not1_b32 exec_lo, exec_lo, s18
	s_cbranch_execnz .LBB5_3
.LBB5_4:
	s_or_b32 exec_lo, exec_lo, s22
	s_add_nc_u64 s[4:5], s[14:15], 1
	s_delay_alu instid0(SALU_CYCLE_1) | instskip(SKIP_1) | instid1(VALU_DEP_1)
	v_add_nc_u64_e32 v[2:3], s[4:5], v[0:1]
	s_mov_b32 s4, exec_lo
	v_cmpx_gt_i64_e64 s[8:9], v[2:3]
	s_cbranch_execz .LBB5_14
; %bb.5:
	v_add_nc_u64_e32 v[4:5], s[14:15], v[0:1]
	s_load_b32 s0, s[0:1], 0x7c
                                        ; implicit-def: $sgpr4_sgpr5
	s_delay_alu instid0(VALU_DEP_1) | instskip(SKIP_2) | instid1(VALU_DEP_3)
	v_add_nc_u64_e32 v[0:1], 2, v[4:5]
	v_not_b32_e32 v7, v5
	v_not_b32_e32 v6, v4
	v_max_i64 v[0:1], s[8:9], v[0:1]
	s_wait_kmcnt 0x0
	s_and_b32 s0, s0, 0xffff
	s_delay_alu instid0(SALU_CYCLE_1) | instskip(SKIP_1) | instid1(VALU_DEP_1)
	s_cmp_lg_u32 s0, 1
	s_cselect_b32 s1, -1, 0
	v_add_nc_u64_e32 v[0:1], v[0:1], v[6:7]
	s_delay_alu instid0(VALU_DEP_1) | instskip(SKIP_3) | instid1(SALU_CYCLE_1)
	v_cmp_gt_u64_e32 vcc_lo, 4, v[0:1]
	s_or_b32 s14, vcc_lo, s1
	s_mov_b32 s1, 0
	s_and_saveexec_b32 s15, s14
	s_xor_b32 s14, exec_lo, s15
	s_cbranch_execnz .LBB5_8
; %bb.6:
	s_or_saveexec_b32 s14, s14
	v_mov_b64_e32 v[6:7], s[4:5]
	s_xor_b32 exec_lo, exec_lo, s14
	s_cbranch_execnz .LBB5_9
.LBB5_7:
	s_or_b32 exec_lo, exec_lo, s14
	s_delay_alu instid0(SALU_CYCLE_1)
	s_and_b32 exec_lo, exec_lo, s1
	s_cbranch_execnz .LBB5_12
	s_branch .LBB5_14
.LBB5_8:
	s_lshl_b64 s[4:5], s[10:11], 1
	s_lshl_b64 s[16:17], s[12:13], 1
	s_mov_b32 s1, exec_lo
	s_add_nc_u64 s[4:5], s[4:5], s[16:17]
	s_lshl_b64 s[16:17], s[2:3], 1
                                        ; implicit-def: $vgpr0_vgpr1
                                        ; implicit-def: $vgpr4_vgpr5
	s_delay_alu instid0(SALU_CYCLE_1)
	s_add_nc_u64 s[4:5], s[4:5], s[16:17]
	s_or_saveexec_b32 s14, s14
	v_mov_b64_e32 v[6:7], s[4:5]
	s_xor_b32 exec_lo, exec_lo, s14
	s_cbranch_execz .LBB5_7
.LBB5_9:
	s_lshl_b64 s[4:5], s[10:11], 1
	s_lshl_b64 s[10:11], s[12:13], 1
	;; [unrolled: 1-line block ×3, first 2 shown]
	s_add_nc_u64 s[4:5], s[4:5], s[10:11]
	v_and_b32_e32 v6, -4, v0
	s_add_nc_u64 s[2:3], s[4:5], s[2:3]
	s_delay_alu instid0(SALU_CYCLE_1) | instskip(NEXT) | instid1(SALU_CYCLE_1)
	s_add_nc_u64 s[4:5], s[6:7], s[2:3]
	v_lshl_add_u64 v[8:9], v[4:5], 1, s[4:5]
	v_dual_mov_b32 v4, 0 :: v_dual_mov_b32 v7, v1
	s_mov_b32 s4, 0
	s_delay_alu instid0(VALU_DEP_2) | instskip(NEXT) | instid1(VALU_DEP_2)
	v_add_nc_u64_e32 v[8:9], 2, v[8:9]
	v_mov_b32_e32 v5, v4
	s_delay_alu instid0(VALU_DEP_3)
	v_mov_b64_e32 v[10:11], v[6:7]
.LBB5_10:                               ; =>This Inner Loop Header: Depth=1
	s_delay_alu instid0(VALU_DEP_1)
	v_add_nc_u64_e32 v[10:11], -4, v[10:11]
	global_store_b64 v[8:9], v[4:5], off
	s_wait_xcnt 0x0
	v_add_nc_u64_e32 v[8:9], 8, v[8:9]
	v_cmp_eq_u64_e32 vcc_lo, 0, v[10:11]
	s_or_b32 s4, vcc_lo, s4
	s_delay_alu instid0(SALU_CYCLE_1)
	s_and_not1_b32 exec_lo, exec_lo, s4
	s_cbranch_execnz .LBB5_10
; %bb.11:
	s_or_b32 exec_lo, exec_lo, s4
	v_cmp_ne_u64_e32 vcc_lo, v[0:1], v[6:7]
	v_add_nc_u64_e32 v[2:3], v[2:3], v[6:7]
	v_mov_b64_e32 v[6:7], s[2:3]
	s_and_not1_b32 s1, s1, exec_lo
	s_and_b32 s2, vcc_lo, exec_lo
	s_delay_alu instid0(SALU_CYCLE_1) | instskip(SKIP_1) | instid1(SALU_CYCLE_1)
	s_or_b32 s1, s1, s2
	s_or_b32 exec_lo, exec_lo, s14
	s_and_b32 exec_lo, exec_lo, s1
	s_cbranch_execz .LBB5_14
.LBB5_12:
	v_lshl_add_u64 v[0:1], v[2:3], 1, v[6:7]
	v_mov_b32_e32 v4, 0
	s_mov_b32 s1, 0
	s_lshl_b32 s2, s0, 1
	s_mov_b32 s3, s1
	v_add_nc_u64_e32 v[0:1], s[6:7], v[0:1]
	s_mov_b32 s4, s1
.LBB5_13:                               ; =>This Inner Loop Header: Depth=1
	v_add_nc_u64_e32 v[2:3], s[0:1], v[2:3]
	global_store_b16 v[0:1], v4, off
	s_wait_xcnt 0x0
	v_add_nc_u64_e32 v[0:1], s[2:3], v[0:1]
	v_cmp_le_i64_e32 vcc_lo, s[8:9], v[2:3]
	s_or_b32 s4, vcc_lo, s4
	s_delay_alu instid0(SALU_CYCLE_1)
	s_and_not1_b32 exec_lo, exec_lo, s4
	s_cbranch_execnz .LBB5_13
.LBB5_14:
	s_endpgm
	.section	.rodata,"a",@progbits
	.p2align	6, 0x0
	.amdhsa_kernel _ZL10tri_kernelI6__halfLb1ELi1EEvPKT_PS1_llllllllllll
		.amdhsa_group_segment_fixed_size 0
		.amdhsa_private_segment_fixed_size 0
		.amdhsa_kernarg_size 368
		.amdhsa_user_sgpr_count 2
		.amdhsa_user_sgpr_dispatch_ptr 0
		.amdhsa_user_sgpr_queue_ptr 0
		.amdhsa_user_sgpr_kernarg_segment_ptr 1
		.amdhsa_user_sgpr_dispatch_id 0
		.amdhsa_user_sgpr_kernarg_preload_length 0
		.amdhsa_user_sgpr_kernarg_preload_offset 0
		.amdhsa_user_sgpr_private_segment_size 0
		.amdhsa_wavefront_size32 1
		.amdhsa_uses_dynamic_stack 0
		.amdhsa_enable_private_segment 0
		.amdhsa_system_sgpr_workgroup_id_x 1
		.amdhsa_system_sgpr_workgroup_id_y 1
		.amdhsa_system_sgpr_workgroup_id_z 1
		.amdhsa_system_sgpr_workgroup_info 0
		.amdhsa_system_vgpr_workitem_id 0
		.amdhsa_next_free_vgpr 12
		.amdhsa_next_free_sgpr 38
		.amdhsa_named_barrier_count 0
		.amdhsa_reserve_vcc 1
		.amdhsa_float_round_mode_32 0
		.amdhsa_float_round_mode_16_64 0
		.amdhsa_float_denorm_mode_32 3
		.amdhsa_float_denorm_mode_16_64 3
		.amdhsa_fp16_overflow 0
		.amdhsa_memory_ordered 1
		.amdhsa_forward_progress 1
		.amdhsa_inst_pref_size 8
		.amdhsa_round_robin_scheduling 0
		.amdhsa_exception_fp_ieee_invalid_op 0
		.amdhsa_exception_fp_denorm_src 0
		.amdhsa_exception_fp_ieee_div_zero 0
		.amdhsa_exception_fp_ieee_overflow 0
		.amdhsa_exception_fp_ieee_underflow 0
		.amdhsa_exception_fp_ieee_inexact 0
		.amdhsa_exception_int_div_zero 0
	.end_amdhsa_kernel
	.section	.text._ZL10tri_kernelI6__halfLb1ELi1EEvPKT_PS1_llllllllllll,"axG",@progbits,_ZL10tri_kernelI6__halfLb1ELi1EEvPKT_PS1_llllllllllll,comdat
.Lfunc_end5:
	.size	_ZL10tri_kernelI6__halfLb1ELi1EEvPKT_PS1_llllllllllll, .Lfunc_end5-_ZL10tri_kernelI6__halfLb1ELi1EEvPKT_PS1_llllllllllll
                                        ; -- End function
	.set _ZL10tri_kernelI6__halfLb1ELi1EEvPKT_PS1_llllllllllll.num_vgpr, 12
	.set _ZL10tri_kernelI6__halfLb1ELi1EEvPKT_PS1_llllllllllll.num_agpr, 0
	.set _ZL10tri_kernelI6__halfLb1ELi1EEvPKT_PS1_llllllllllll.numbered_sgpr, 38
	.set _ZL10tri_kernelI6__halfLb1ELi1EEvPKT_PS1_llllllllllll.num_named_barrier, 0
	.set _ZL10tri_kernelI6__halfLb1ELi1EEvPKT_PS1_llllllllllll.private_seg_size, 0
	.set _ZL10tri_kernelI6__halfLb1ELi1EEvPKT_PS1_llllllllllll.uses_vcc, 1
	.set _ZL10tri_kernelI6__halfLb1ELi1EEvPKT_PS1_llllllllllll.uses_flat_scratch, 0
	.set _ZL10tri_kernelI6__halfLb1ELi1EEvPKT_PS1_llllllllllll.has_dyn_sized_stack, 0
	.set _ZL10tri_kernelI6__halfLb1ELi1EEvPKT_PS1_llllllllllll.has_recursion, 0
	.set _ZL10tri_kernelI6__halfLb1ELi1EEvPKT_PS1_llllllllllll.has_indirect_call, 0
	.section	.AMDGPU.csdata,"",@progbits
; Kernel info:
; codeLenInByte = 908
; TotalNumSgprs: 40
; NumVgprs: 12
; ScratchSize: 0
; MemoryBound: 0
; FloatMode: 240
; IeeeMode: 1
; LDSByteSize: 0 bytes/workgroup (compile time only)
; SGPRBlocks: 0
; VGPRBlocks: 0
; NumSGPRsForWavesPerEU: 40
; NumVGPRsForWavesPerEU: 12
; NamedBarCnt: 0
; Occupancy: 16
; WaveLimiterHint : 0
; COMPUTE_PGM_RSRC2:SCRATCH_EN: 0
; COMPUTE_PGM_RSRC2:USER_SGPR: 2
; COMPUTE_PGM_RSRC2:TRAP_HANDLER: 0
; COMPUTE_PGM_RSRC2:TGID_X_EN: 1
; COMPUTE_PGM_RSRC2:TGID_Y_EN: 1
; COMPUTE_PGM_RSRC2:TGID_Z_EN: 1
; COMPUTE_PGM_RSRC2:TIDIG_COMP_CNT: 0
	.section	.text._ZL10tri_kernelI6__halfLb0ELi0EEvPKT_PS1_llllllllllll,"axG",@progbits,_ZL10tri_kernelI6__halfLb0ELi0EEvPKT_PS1_llllllllllll,comdat
	.globl	_ZL10tri_kernelI6__halfLb0ELi0EEvPKT_PS1_llllllllllll ; -- Begin function _ZL10tri_kernelI6__halfLb0ELi0EEvPKT_PS1_llllllllllll
	.p2align	8
	.type	_ZL10tri_kernelI6__halfLb0ELi0EEvPKT_PS1_llllllllllll,@function
_ZL10tri_kernelI6__halfLb0ELi0EEvPKT_PS1_llllllllllll: ; @_ZL10tri_kernelI6__halfLb0ELi0EEvPKT_PS1_llllllllllll
; %bb.0:
	s_clause 0x1
	s_load_b128 s[12:15], s[0:1], 0x20
	s_load_b256 s[4:11], s[0:1], 0x0
	s_bfe_u32 s2, ttmp6, 0x4000c
	s_bfe_u32 s16, ttmp6, 0x40010
	s_add_co_i32 s2, s2, 1
	s_and_b32 s3, ttmp6, 15
	s_mul_i32 s2, ttmp9, s2
	s_and_b32 s18, ttmp7, 0xffff
	s_add_co_i32 s16, s16, 1
	s_bfe_u32 s17, ttmp6, 0x40014
	s_add_co_i32 s3, s3, s2
	s_mul_i32 s2, s18, s16
	s_bfe_u32 s16, ttmp6, 0x40004
	s_lshr_b32 s19, ttmp7, 16
	s_add_co_i32 s17, s17, 1
	s_add_co_i32 s2, s16, s2
	s_mul_i32 s16, s19, s17
	s_bfe_u32 s17, ttmp6, 0x40008
	s_getreg_b32 s20, hwreg(HW_REG_IB_STS2, 6, 4)
	s_add_co_i32 s16, s17, s16
	s_cmp_eq_u32 s20, 0
	s_mov_b32 s17, 0
	s_cselect_b32 s16, s19, s16
	s_cselect_b32 s18, s18, s2
	s_mov_b32 s19, s17
	s_cselect_b32 s2, ttmp9, s3
	s_mov_b32 s3, s17
	s_wait_kmcnt 0x0
	v_cmp_le_i64_e64 s14, s[14:15], s[16:17]
	v_cmp_le_i64_e64 s12, s[12:13], s[18:19]
	;; [unrolled: 1-line block ×3, first 2 shown]
	s_or_b32 s11, s12, s14
	s_delay_alu instid0(SALU_CYCLE_1) | instskip(NEXT) | instid1(SALU_CYCLE_1)
	s_or_b32 s10, s10, s11
	s_and_b32 vcc_lo, exec_lo, s10
	s_cbranch_vccnz .LBB6_12
; %bb.1:
	s_clause 0x1
	s_load_b128 s[12:15], s[0:1], 0x58
	s_load_b64 s[20:21], s[0:1], 0x68
	v_mov_b32_e32 v1, 0
	s_mov_b32 s24, exec_lo
	s_wait_kmcnt 0x0
	s_mul_u64 s[10:11], s[14:15], s[18:19]
	s_mul_u64 s[14:15], s[20:21], s[16:17]
	v_cmpx_gt_u32_e64 s2, v0
	s_cbranch_execz .LBB6_9
; %bb.2:
	v_dual_mov_b32 v3, v1 :: v_dual_add_nc_u32 v2, 1, v0
	s_load_b32 s20, s[0:1], 0x7c
	v_mov_b64_e32 v[4:5], v[0:1]
	s_mul_u64 s[22:23], s[12:13], s[2:3]
	s_mov_b32 s25, -1
	v_max_u64 v[2:3], v[2:3], s[2:3]
	s_wait_kmcnt 0x0
	s_and_b32 s20, s20, 0xffff
	s_delay_alu instid0(SALU_CYCLE_1) | instskip(SKIP_1) | instid1(VALU_DEP_1)
	s_cmp_eq_u32 s20, 1
	s_cselect_b32 s21, -1, 0
	v_sub_nc_u64_e32 v[2:3], v[2:3], v[0:1]
	s_delay_alu instid0(VALU_DEP_1) | instskip(SKIP_1) | instid1(SALU_CYCLE_1)
	v_cmp_lt_u64_e32 vcc_lo, 3, v[2:3]
	s_and_b32 s26, vcc_lo, s21
	s_and_saveexec_b32 s21, s26
	s_cbranch_execz .LBB6_6
; %bb.3:
	s_lshl_b64 s[26:27], s[22:23], 1
	s_lshl_b64 s[28:29], s[10:11], 1
	s_add_nc_u64 s[26:27], s[6:7], s[26:27]
	v_dual_mov_b32 v7, 0 :: v_dual_lshlrev_b32 v6, 1, v0
	v_dual_mov_b32 v5, v3 :: v_dual_bitop2_b32 v4, -4, v2 bitop3:0x40
	s_lshl_b64 s[30:31], s[14:15], 1
	s_add_nc_u64 s[26:27], s[26:27], s[28:29]
	s_mov_b32 s25, 0
	s_add_nc_u64 s[26:27], s[26:27], s[30:31]
	v_mov_b64_e32 v[10:11], v[4:5]
	v_add_nc_u64_e32 v[8:9], s[26:27], v[6:7]
	v_mov_b32_e32 v6, v7
.LBB6_4:                                ; =>This Inner Loop Header: Depth=1
	s_delay_alu instid0(VALU_DEP_3)
	v_add_nc_u64_e32 v[10:11], -4, v[10:11]
	global_store_b64 v[8:9], v[6:7], off
	s_wait_xcnt 0x0
	v_add_nc_u64_e32 v[8:9], 8, v[8:9]
	v_cmp_eq_u64_e32 vcc_lo, 0, v[10:11]
	s_or_b32 s25, vcc_lo, s25
	s_delay_alu instid0(SALU_CYCLE_1)
	s_and_not1_b32 exec_lo, exec_lo, s25
	s_cbranch_execnz .LBB6_4
; %bb.5:
	s_or_b32 exec_lo, exec_lo, s25
	v_cmp_ne_u64_e32 vcc_lo, v[2:3], v[4:5]
	v_add_nc_u64_e32 v[4:5], v[4:5], v[0:1]
	s_or_not1_b32 s25, vcc_lo, exec_lo
.LBB6_6:
	s_or_b32 exec_lo, exec_lo, s21
	s_delay_alu instid0(SALU_CYCLE_1)
	s_and_b32 exec_lo, exec_lo, s25
	s_cbranch_execz .LBB6_9
; %bb.7:
	s_lshl_b64 s[26:27], s[14:15], 1
	s_lshl_b64 s[28:29], s[10:11], 1
	;; [unrolled: 1-line block ×3, first 2 shown]
	s_add_nc_u64 s[26:27], s[26:27], s[28:29]
	v_mov_b32_e32 v6, 0
	s_add_nc_u64 s[22:23], s[26:27], s[22:23]
	s_mov_b32 s21, 0
	s_add_nc_u64 s[22:23], s[6:7], s[22:23]
	s_mov_b32 s25, s21
	v_lshl_add_u64 v[2:3], v[4:5], 1, s[22:23]
	s_lshl_b32 s22, s20, 1
	s_mov_b32 s23, s21
.LBB6_8:                                ; =>This Inner Loop Header: Depth=1
	v_add_nc_u64_e32 v[4:5], s[20:21], v[4:5]
	global_store_b16 v[2:3], v6, off
	s_wait_xcnt 0x0
	v_add_nc_u64_e32 v[2:3], s[22:23], v[2:3]
	v_cmp_le_u64_e32 vcc_lo, s[2:3], v[4:5]
	s_or_b32 s25, vcc_lo, s25
	s_delay_alu instid0(SALU_CYCLE_1)
	s_and_not1_b32 exec_lo, exec_lo, s25
	s_cbranch_execnz .LBB6_8
.LBB6_9:
	s_or_b32 exec_lo, exec_lo, s24
	v_add_nc_u64_e32 v[2:3], s[2:3], v[0:1]
	s_mov_b32 s20, exec_lo
	s_delay_alu instid0(VALU_DEP_1)
	v_cmpx_gt_i64_e64 s[8:9], v[2:3]
	s_cbranch_execz .LBB6_12
; %bb.10:
	s_clause 0x2
	s_load_b32 s26, s[0:1], 0x7c
	s_load_b64 s[24:25], s[0:1], 0x48
	s_load_b128 s[20:23], s[0:1], 0x38
	s_wait_xcnt 0x0
	s_lshl_b64 s[0:1], s[14:15], 1
	s_lshl_b64 s[12:13], s[12:13], 1
	;; [unrolled: 1-line block ×3, first 2 shown]
	s_add_nc_u64 s[12:13], s[12:13], 2
	s_add_nc_u64 s[10:11], s[0:1], s[10:11]
	s_mul_u64 s[12:13], s[12:13], s[2:3]
	v_dual_mov_b32 v5, 0 :: v_dual_lshlrev_b32 v4, 1, v0
	s_add_nc_u64 s[10:11], s[10:11], s[12:13]
	s_mov_b32 s1, 0
	s_add_nc_u64 s[6:7], s[6:7], s[10:11]
	s_delay_alu instid0(VALU_DEP_1) | instid1(SALU_CYCLE_1)
	v_add_nc_u64_e32 v[0:1], s[6:7], v[4:5]
	s_mov_b32 s6, s1
	s_wait_kmcnt 0x0
	s_and_b32 s0, s26, 0xffff
	s_mul_u64 s[14:15], s[24:25], s[16:17]
	s_mul_u64 s[16:17], s[22:23], s[18:19]
	s_lshl_b64 s[18:19], s[20:21], 1
	s_lshl_b64 s[14:15], s[14:15], 1
	;; [unrolled: 1-line block ×3, first 2 shown]
	s_add_nc_u64 s[18:19], s[18:19], 2
	s_add_nc_u64 s[14:15], s[14:15], s[16:17]
	s_mul_u64 s[2:3], s[18:19], s[2:3]
	s_delay_alu instid0(SALU_CYCLE_1) | instskip(NEXT) | instid1(SALU_CYCLE_1)
	s_add_nc_u64 s[2:3], s[14:15], s[2:3]
	s_add_nc_u64 s[2:3], s[4:5], s[2:3]
	s_mov_b64 s[4:5], 0
	v_add_nc_u64_e32 v[4:5], s[2:3], v[4:5]
	s_lshl_b32 s2, s0, 1
	s_mov_b32 s3, s1
.LBB6_11:                               ; =>This Inner Loop Header: Depth=1
	s_delay_alu instid0(VALU_DEP_1)
	v_add_nc_u64_e32 v[6:7], s[4:5], v[4:5]
	v_add_nc_u64_e32 v[2:3], s[0:1], v[2:3]
	global_load_u16 v8, v[6:7], off
	v_cmp_le_i64_e32 vcc_lo, s[8:9], v[2:3]
	s_wait_xcnt 0x0
	v_add_nc_u64_e32 v[6:7], s[4:5], v[0:1]
	s_add_nc_u64 s[4:5], s[4:5], s[2:3]
	s_or_b32 s6, vcc_lo, s6
	s_wait_loadcnt 0x0
	global_store_b16 v[6:7], v8, off
	s_wait_xcnt 0x0
	s_and_not1_b32 exec_lo, exec_lo, s6
	s_cbranch_execnz .LBB6_11
.LBB6_12:
	s_endpgm
	.section	.rodata,"a",@progbits
	.p2align	6, 0x0
	.amdhsa_kernel _ZL10tri_kernelI6__halfLb0ELi0EEvPKT_PS1_llllllllllll
		.amdhsa_group_segment_fixed_size 0
		.amdhsa_private_segment_fixed_size 0
		.amdhsa_kernarg_size 368
		.amdhsa_user_sgpr_count 2
		.amdhsa_user_sgpr_dispatch_ptr 0
		.amdhsa_user_sgpr_queue_ptr 0
		.amdhsa_user_sgpr_kernarg_segment_ptr 1
		.amdhsa_user_sgpr_dispatch_id 0
		.amdhsa_user_sgpr_kernarg_preload_length 0
		.amdhsa_user_sgpr_kernarg_preload_offset 0
		.amdhsa_user_sgpr_private_segment_size 0
		.amdhsa_wavefront_size32 1
		.amdhsa_uses_dynamic_stack 0
		.amdhsa_enable_private_segment 0
		.amdhsa_system_sgpr_workgroup_id_x 1
		.amdhsa_system_sgpr_workgroup_id_y 1
		.amdhsa_system_sgpr_workgroup_id_z 1
		.amdhsa_system_sgpr_workgroup_info 0
		.amdhsa_system_vgpr_workitem_id 0
		.amdhsa_next_free_vgpr 12
		.amdhsa_next_free_sgpr 32
		.amdhsa_named_barrier_count 0
		.amdhsa_reserve_vcc 1
		.amdhsa_float_round_mode_32 0
		.amdhsa_float_round_mode_16_64 0
		.amdhsa_float_denorm_mode_32 3
		.amdhsa_float_denorm_mode_16_64 3
		.amdhsa_fp16_overflow 0
		.amdhsa_memory_ordered 1
		.amdhsa_forward_progress 1
		.amdhsa_inst_pref_size 7
		.amdhsa_round_robin_scheduling 0
		.amdhsa_exception_fp_ieee_invalid_op 0
		.amdhsa_exception_fp_denorm_src 0
		.amdhsa_exception_fp_ieee_div_zero 0
		.amdhsa_exception_fp_ieee_overflow 0
		.amdhsa_exception_fp_ieee_underflow 0
		.amdhsa_exception_fp_ieee_inexact 0
		.amdhsa_exception_int_div_zero 0
	.end_amdhsa_kernel
	.section	.text._ZL10tri_kernelI6__halfLb0ELi0EEvPKT_PS1_llllllllllll,"axG",@progbits,_ZL10tri_kernelI6__halfLb0ELi0EEvPKT_PS1_llllllllllll,comdat
.Lfunc_end6:
	.size	_ZL10tri_kernelI6__halfLb0ELi0EEvPKT_PS1_llllllllllll, .Lfunc_end6-_ZL10tri_kernelI6__halfLb0ELi0EEvPKT_PS1_llllllllllll
                                        ; -- End function
	.set _ZL10tri_kernelI6__halfLb0ELi0EEvPKT_PS1_llllllllllll.num_vgpr, 12
	.set _ZL10tri_kernelI6__halfLb0ELi0EEvPKT_PS1_llllllllllll.num_agpr, 0
	.set _ZL10tri_kernelI6__halfLb0ELi0EEvPKT_PS1_llllllllllll.numbered_sgpr, 32
	.set _ZL10tri_kernelI6__halfLb0ELi0EEvPKT_PS1_llllllllllll.num_named_barrier, 0
	.set _ZL10tri_kernelI6__halfLb0ELi0EEvPKT_PS1_llllllllllll.private_seg_size, 0
	.set _ZL10tri_kernelI6__halfLb0ELi0EEvPKT_PS1_llllllllllll.uses_vcc, 1
	.set _ZL10tri_kernelI6__halfLb0ELi0EEvPKT_PS1_llllllllllll.uses_flat_scratch, 0
	.set _ZL10tri_kernelI6__halfLb0ELi0EEvPKT_PS1_llllllllllll.has_dyn_sized_stack, 0
	.set _ZL10tri_kernelI6__halfLb0ELi0EEvPKT_PS1_llllllllllll.has_recursion, 0
	.set _ZL10tri_kernelI6__halfLb0ELi0EEvPKT_PS1_llllllllllll.has_indirect_call, 0
	.section	.AMDGPU.csdata,"",@progbits
; Kernel info:
; codeLenInByte = 828
; TotalNumSgprs: 34
; NumVgprs: 12
; ScratchSize: 0
; MemoryBound: 0
; FloatMode: 240
; IeeeMode: 1
; LDSByteSize: 0 bytes/workgroup (compile time only)
; SGPRBlocks: 0
; VGPRBlocks: 0
; NumSGPRsForWavesPerEU: 34
; NumVGPRsForWavesPerEU: 12
; NamedBarCnt: 0
; Occupancy: 16
; WaveLimiterHint : 0
; COMPUTE_PGM_RSRC2:SCRATCH_EN: 0
; COMPUTE_PGM_RSRC2:USER_SGPR: 2
; COMPUTE_PGM_RSRC2:TRAP_HANDLER: 0
; COMPUTE_PGM_RSRC2:TGID_X_EN: 1
; COMPUTE_PGM_RSRC2:TGID_Y_EN: 1
; COMPUTE_PGM_RSRC2:TGID_Z_EN: 1
; COMPUTE_PGM_RSRC2:TIDIG_COMP_CNT: 0
	.section	.text._ZL10tri_kernelI6__halfLb0ELi1EEvPKT_PS1_llllllllllll,"axG",@progbits,_ZL10tri_kernelI6__halfLb0ELi1EEvPKT_PS1_llllllllllll,comdat
	.globl	_ZL10tri_kernelI6__halfLb0ELi1EEvPKT_PS1_llllllllllll ; -- Begin function _ZL10tri_kernelI6__halfLb0ELi1EEvPKT_PS1_llllllllllll
	.p2align	8
	.type	_ZL10tri_kernelI6__halfLb0ELi1EEvPKT_PS1_llllllllllll,@function
_ZL10tri_kernelI6__halfLb0ELi1EEvPKT_PS1_llllllllllll: ; @_ZL10tri_kernelI6__halfLb0ELi1EEvPKT_PS1_llllllllllll
; %bb.0:
	s_clause 0x1
	s_load_b128 s[12:15], s[0:1], 0x20
	s_load_b256 s[4:11], s[0:1], 0x0
	s_bfe_u32 s2, ttmp6, 0x4000c
	s_bfe_u32 s16, ttmp6, 0x40010
	s_add_co_i32 s2, s2, 1
	s_and_b32 s3, ttmp6, 15
	s_mul_i32 s2, ttmp9, s2
	s_and_b32 s18, ttmp7, 0xffff
	s_add_co_i32 s16, s16, 1
	s_bfe_u32 s17, ttmp6, 0x40014
	s_add_co_i32 s3, s3, s2
	s_mul_i32 s2, s18, s16
	s_bfe_u32 s16, ttmp6, 0x40004
	s_lshr_b32 s19, ttmp7, 16
	s_add_co_i32 s17, s17, 1
	s_add_co_i32 s2, s16, s2
	s_mul_i32 s16, s19, s17
	s_bfe_u32 s17, ttmp6, 0x40008
	s_getreg_b32 s20, hwreg(HW_REG_IB_STS2, 6, 4)
	s_add_co_i32 s16, s17, s16
	s_cmp_eq_u32 s20, 0
	s_mov_b32 s17, 0
	s_cselect_b32 s16, s19, s16
	s_cselect_b32 s18, s18, s2
	s_mov_b32 s19, s17
	s_cselect_b32 s2, ttmp9, s3
	s_mov_b32 s3, s17
	s_wait_kmcnt 0x0
	v_cmp_le_i64_e64 s14, s[14:15], s[16:17]
	v_cmp_le_i64_e64 s12, s[12:13], s[18:19]
	;; [unrolled: 1-line block ×3, first 2 shown]
	s_or_b32 s11, s12, s14
	s_delay_alu instid0(SALU_CYCLE_1) | instskip(NEXT) | instid1(SALU_CYCLE_1)
	s_or_b32 s10, s10, s11
	s_and_b32 vcc_lo, exec_lo, s10
	s_cbranch_vccnz .LBB7_12
; %bb.1:
	s_clause 0x1
	s_load_b128 s[12:15], s[0:1], 0x58
	s_load_b64 s[22:23], s[0:1], 0x68
	v_mov_b32_e32 v1, 0
	s_add_nc_u64 s[20:21], s[2:3], 1
	s_mov_b32 s26, exec_lo
	s_wait_kmcnt 0x0
	s_mul_u64 s[10:11], s[14:15], s[18:19]
	s_mul_u64 s[14:15], s[22:23], s[16:17]
	v_cmpx_ge_u32_e64 s2, v0
	s_cbranch_execz .LBB7_9
; %bb.2:
	s_load_b32 s22, s[0:1], 0x7c
	v_sub_nc_u64_e32 v[2:3], s[20:21], v[0:1]
	v_mov_b64_e32 v[4:5], v[0:1]
	s_mul_u64 s[24:25], s[12:13], s[2:3]
	s_mov_b32 s27, -1
	s_delay_alu instid0(VALU_DEP_2) | instskip(SKIP_2) | instid1(SALU_CYCLE_1)
	v_cmp_lt_u64_e32 vcc_lo, 3, v[2:3]
	s_wait_kmcnt 0x0
	s_and_b32 s22, s22, 0xffff
	s_cmp_eq_u32 s22, 1
	s_cselect_b32 s23, -1, 0
	s_delay_alu instid0(SALU_CYCLE_1) | instskip(NEXT) | instid1(SALU_CYCLE_1)
	s_and_b32 s28, vcc_lo, s23
	s_and_saveexec_b32 s23, s28
	s_cbranch_execz .LBB7_6
; %bb.3:
	s_lshl_b64 s[28:29], s[24:25], 1
	s_lshl_b64 s[30:31], s[10:11], 1
	s_add_nc_u64 s[28:29], s[6:7], s[28:29]
	v_dual_mov_b32 v7, 0 :: v_dual_lshlrev_b32 v6, 1, v0
	v_dual_mov_b32 v5, v3 :: v_dual_bitop2_b32 v4, -4, v2 bitop3:0x40
	s_lshl_b64 s[34:35], s[14:15], 1
	s_add_nc_u64 s[28:29], s[28:29], s[30:31]
	s_mov_b32 s27, 0
	s_add_nc_u64 s[28:29], s[28:29], s[34:35]
	v_mov_b64_e32 v[10:11], v[4:5]
	v_add_nc_u64_e32 v[8:9], s[28:29], v[6:7]
	v_mov_b32_e32 v6, v7
.LBB7_4:                                ; =>This Inner Loop Header: Depth=1
	s_delay_alu instid0(VALU_DEP_3)
	v_add_nc_u64_e32 v[10:11], -4, v[10:11]
	global_store_b64 v[8:9], v[6:7], off
	s_wait_xcnt 0x0
	v_add_nc_u64_e32 v[8:9], 8, v[8:9]
	v_cmp_eq_u64_e32 vcc_lo, 0, v[10:11]
	s_or_b32 s27, vcc_lo, s27
	s_delay_alu instid0(SALU_CYCLE_1)
	s_and_not1_b32 exec_lo, exec_lo, s27
	s_cbranch_execnz .LBB7_4
; %bb.5:
	s_or_b32 exec_lo, exec_lo, s27
	v_cmp_ne_u64_e32 vcc_lo, v[2:3], v[4:5]
	v_add_nc_u64_e32 v[4:5], v[4:5], v[0:1]
	s_or_not1_b32 s27, vcc_lo, exec_lo
.LBB7_6:
	s_or_b32 exec_lo, exec_lo, s23
	s_delay_alu instid0(SALU_CYCLE_1)
	s_and_b32 exec_lo, exec_lo, s27
	s_cbranch_execz .LBB7_9
; %bb.7:
	s_lshl_b64 s[28:29], s[14:15], 1
	s_lshl_b64 s[30:31], s[10:11], 1
	;; [unrolled: 1-line block ×3, first 2 shown]
	s_add_nc_u64 s[28:29], s[28:29], s[30:31]
	v_mov_b32_e32 v6, 0
	s_add_nc_u64 s[24:25], s[28:29], s[24:25]
	s_mov_b32 s23, 0
	s_add_nc_u64 s[24:25], s[6:7], s[24:25]
	s_mov_b32 s27, s23
	v_lshl_add_u64 v[2:3], v[4:5], 1, s[24:25]
	s_lshl_b32 s24, s22, 1
	s_mov_b32 s25, s23
.LBB7_8:                                ; =>This Inner Loop Header: Depth=1
	v_add_nc_u64_e32 v[4:5], s[22:23], v[4:5]
	global_store_b16 v[2:3], v6, off
	s_wait_xcnt 0x0
	v_add_nc_u64_e32 v[2:3], s[24:25], v[2:3]
	v_cmp_lt_u64_e32 vcc_lo, s[2:3], v[4:5]
	s_or_b32 s27, vcc_lo, s27
	s_delay_alu instid0(SALU_CYCLE_1)
	s_and_not1_b32 exec_lo, exec_lo, s27
	s_cbranch_execnz .LBB7_8
.LBB7_9:
	s_or_b32 exec_lo, exec_lo, s26
	v_add_nc_u64_e32 v[2:3], s[20:21], v[0:1]
	s_mov_b32 s20, exec_lo
	s_delay_alu instid0(VALU_DEP_1)
	v_cmpx_gt_i64_e64 s[8:9], v[2:3]
	s_cbranch_execz .LBB7_12
; %bb.10:
	s_clause 0x2
	s_load_b128 s[20:23], s[0:1], 0x38
	s_load_b64 s[24:25], s[0:1], 0x48
	s_load_b32 s26, s[0:1], 0x7c
	s_wait_xcnt 0x0
	s_add_nc_u64 s[0:1], s[12:13], 1
	s_add_nc_u64 s[10:11], s[14:15], s[10:11]
	s_mul_u64 s[0:1], s[0:1], s[2:3]
	s_delay_alu instid0(SALU_CYCLE_1) | instskip(NEXT) | instid1(SALU_CYCLE_1)
	s_add_nc_u64 s[0:1], s[10:11], s[0:1]
	v_add_nc_u64_e32 v[4:5], s[0:1], v[0:1]
	s_wait_kmcnt 0x0
	s_mul_u64 s[10:11], s[22:23], s[18:19]
	s_mul_u64 s[12:13], s[24:25], s[16:17]
	s_add_nc_u64 s[14:15], s[20:21], 1
	s_add_nc_u64 s[10:11], s[12:13], s[10:11]
	s_mul_u64 s[2:3], s[14:15], s[2:3]
	s_delay_alu instid0(SALU_CYCLE_1) | instskip(NEXT) | instid1(SALU_CYCLE_1)
	s_add_nc_u64 s[0:1], s[10:11], s[2:3]
	v_add_nc_u64_e32 v[6:7], s[0:1], v[0:1]
	v_lshl_add_u64 v[0:1], v[4:5], 1, s[6:7]
	s_and_b32 s0, s26, 0xffff
	s_mov_b32 s1, 0
	s_lshl_b32 s2, s0, 1
	s_mov_b32 s3, s1
	s_mov_b32 s6, s1
	v_lshl_add_u64 v[4:5], v[6:7], 1, s[4:5]
	s_mov_b64 s[4:5], 2
.LBB7_11:                               ; =>This Inner Loop Header: Depth=1
	s_delay_alu instid0(VALU_DEP_1) | instid1(SALU_CYCLE_1)
	v_add_nc_u64_e32 v[6:7], s[4:5], v[4:5]
	v_add_nc_u64_e32 v[2:3], s[0:1], v[2:3]
	global_load_u16 v8, v[6:7], off
	v_cmp_le_i64_e32 vcc_lo, s[8:9], v[2:3]
	s_wait_xcnt 0x0
	v_add_nc_u64_e32 v[6:7], s[4:5], v[0:1]
	s_add_nc_u64 s[4:5], s[4:5], s[2:3]
	s_or_b32 s6, vcc_lo, s6
	s_wait_loadcnt 0x0
	global_store_b16 v[6:7], v8, off
	s_wait_xcnt 0x0
	s_and_not1_b32 exec_lo, exec_lo, s6
	s_cbranch_execnz .LBB7_11
.LBB7_12:
	s_endpgm
	.section	.rodata,"a",@progbits
	.p2align	6, 0x0
	.amdhsa_kernel _ZL10tri_kernelI6__halfLb0ELi1EEvPKT_PS1_llllllllllll
		.amdhsa_group_segment_fixed_size 0
		.amdhsa_private_segment_fixed_size 0
		.amdhsa_kernarg_size 368
		.amdhsa_user_sgpr_count 2
		.amdhsa_user_sgpr_dispatch_ptr 0
		.amdhsa_user_sgpr_queue_ptr 0
		.amdhsa_user_sgpr_kernarg_segment_ptr 1
		.amdhsa_user_sgpr_dispatch_id 0
		.amdhsa_user_sgpr_kernarg_preload_length 0
		.amdhsa_user_sgpr_kernarg_preload_offset 0
		.amdhsa_user_sgpr_private_segment_size 0
		.amdhsa_wavefront_size32 1
		.amdhsa_uses_dynamic_stack 0
		.amdhsa_enable_private_segment 0
		.amdhsa_system_sgpr_workgroup_id_x 1
		.amdhsa_system_sgpr_workgroup_id_y 1
		.amdhsa_system_sgpr_workgroup_id_z 1
		.amdhsa_system_sgpr_workgroup_info 0
		.amdhsa_system_vgpr_workitem_id 0
		.amdhsa_next_free_vgpr 12
		.amdhsa_next_free_sgpr 36
		.amdhsa_named_barrier_count 0
		.amdhsa_reserve_vcc 1
		.amdhsa_float_round_mode_32 0
		.amdhsa_float_round_mode_16_64 0
		.amdhsa_float_denorm_mode_32 3
		.amdhsa_float_denorm_mode_16_64 3
		.amdhsa_fp16_overflow 0
		.amdhsa_memory_ordered 1
		.amdhsa_forward_progress 1
		.amdhsa_inst_pref_size 7
		.amdhsa_round_robin_scheduling 0
		.amdhsa_exception_fp_ieee_invalid_op 0
		.amdhsa_exception_fp_denorm_src 0
		.amdhsa_exception_fp_ieee_div_zero 0
		.amdhsa_exception_fp_ieee_overflow 0
		.amdhsa_exception_fp_ieee_underflow 0
		.amdhsa_exception_fp_ieee_inexact 0
		.amdhsa_exception_int_div_zero 0
	.end_amdhsa_kernel
	.section	.text._ZL10tri_kernelI6__halfLb0ELi1EEvPKT_PS1_llllllllllll,"axG",@progbits,_ZL10tri_kernelI6__halfLb0ELi1EEvPKT_PS1_llllllllllll,comdat
.Lfunc_end7:
	.size	_ZL10tri_kernelI6__halfLb0ELi1EEvPKT_PS1_llllllllllll, .Lfunc_end7-_ZL10tri_kernelI6__halfLb0ELi1EEvPKT_PS1_llllllllllll
                                        ; -- End function
	.set _ZL10tri_kernelI6__halfLb0ELi1EEvPKT_PS1_llllllllllll.num_vgpr, 12
	.set _ZL10tri_kernelI6__halfLb0ELi1EEvPKT_PS1_llllllllllll.num_agpr, 0
	.set _ZL10tri_kernelI6__halfLb0ELi1EEvPKT_PS1_llllllllllll.numbered_sgpr, 36
	.set _ZL10tri_kernelI6__halfLb0ELi1EEvPKT_PS1_llllllllllll.num_named_barrier, 0
	.set _ZL10tri_kernelI6__halfLb0ELi1EEvPKT_PS1_llllllllllll.private_seg_size, 0
	.set _ZL10tri_kernelI6__halfLb0ELi1EEvPKT_PS1_llllllllllll.uses_vcc, 1
	.set _ZL10tri_kernelI6__halfLb0ELi1EEvPKT_PS1_llllllllllll.uses_flat_scratch, 0
	.set _ZL10tri_kernelI6__halfLb0ELi1EEvPKT_PS1_llllllllllll.has_dyn_sized_stack, 0
	.set _ZL10tri_kernelI6__halfLb0ELi1EEvPKT_PS1_llllllllllll.has_recursion, 0
	.set _ZL10tri_kernelI6__halfLb0ELi1EEvPKT_PS1_llllllllllll.has_indirect_call, 0
	.section	.AMDGPU.csdata,"",@progbits
; Kernel info:
; codeLenInByte = 792
; TotalNumSgprs: 38
; NumVgprs: 12
; ScratchSize: 0
; MemoryBound: 0
; FloatMode: 240
; IeeeMode: 1
; LDSByteSize: 0 bytes/workgroup (compile time only)
; SGPRBlocks: 0
; VGPRBlocks: 0
; NumSGPRsForWavesPerEU: 38
; NumVGPRsForWavesPerEU: 12
; NamedBarCnt: 0
; Occupancy: 16
; WaveLimiterHint : 0
; COMPUTE_PGM_RSRC2:SCRATCH_EN: 0
; COMPUTE_PGM_RSRC2:USER_SGPR: 2
; COMPUTE_PGM_RSRC2:TRAP_HANDLER: 0
; COMPUTE_PGM_RSRC2:TGID_X_EN: 1
; COMPUTE_PGM_RSRC2:TGID_Y_EN: 1
; COMPUTE_PGM_RSRC2:TGID_Z_EN: 1
; COMPUTE_PGM_RSRC2:TIDIG_COMP_CNT: 0
	.section	.text._ZL10tri_kernelI14__hip_bfloat16Lb1ELi0EEvPKT_PS1_llllllllllll,"axG",@progbits,_ZL10tri_kernelI14__hip_bfloat16Lb1ELi0EEvPKT_PS1_llllllllllll,comdat
	.globl	_ZL10tri_kernelI14__hip_bfloat16Lb1ELi0EEvPKT_PS1_llllllllllll ; -- Begin function _ZL10tri_kernelI14__hip_bfloat16Lb1ELi0EEvPKT_PS1_llllllllllll
	.p2align	8
	.type	_ZL10tri_kernelI14__hip_bfloat16Lb1ELi0EEvPKT_PS1_llllllllllll,@function
_ZL10tri_kernelI14__hip_bfloat16Lb1ELi0EEvPKT_PS1_llllllllllll: ; @_ZL10tri_kernelI14__hip_bfloat16Lb1ELi0EEvPKT_PS1_llllllllllll
; %bb.0:
	s_clause 0x1
	s_load_b128 s[20:23], s[0:1], 0x20
	s_load_b256 s[4:11], s[0:1], 0x0
	s_bfe_u32 s2, ttmp6, 0x4000c
	s_bfe_u32 s12, ttmp6, 0x40010
	s_add_co_i32 s2, s2, 1
	s_and_b32 s3, ttmp6, 15
	s_mul_i32 s2, ttmp9, s2
	s_and_b32 s13, ttmp7, 0xffff
	s_add_co_i32 s12, s12, 1
	s_bfe_u32 s14, ttmp6, 0x40014
	s_add_co_i32 s3, s3, s2
	s_mul_i32 s2, s13, s12
	s_bfe_u32 s12, ttmp6, 0x40004
	s_lshr_b32 s15, ttmp7, 16
	s_add_co_i32 s14, s14, 1
	s_add_co_i32 s12, s12, s2
	s_mul_i32 s2, s15, s14
	s_bfe_u32 s14, ttmp6, 0x40008
	s_getreg_b32 s16, hwreg(HW_REG_IB_STS2, 6, 4)
	s_add_co_i32 s14, s14, s2
	s_cmp_eq_u32 s16, 0
	s_mov_b32 s17, 0
	s_cselect_b32 s16, s15, s14
	s_cselect_b32 s18, s13, s12
	s_mov_b32 s19, s17
	s_cselect_b32 s14, ttmp9, s3
	s_mov_b32 s15, s17
	s_wait_kmcnt 0x0
	v_cmp_le_i64_e64 s2, s[22:23], s[16:17]
	v_cmp_le_i64_e64 s3, s[20:21], s[18:19]
	;; [unrolled: 1-line block ×3, first 2 shown]
	s_or_b32 s2, s3, s2
	s_delay_alu instid0(SALU_CYCLE_1) | instskip(NEXT) | instid1(SALU_CYCLE_1)
	s_or_b32 s2, s10, s2
	s_and_b32 vcc_lo, exec_lo, s2
	s_cbranch_vccnz .LBB8_12
; %bb.1:
	s_clause 0x1
	s_load_b128 s[20:23], s[0:1], 0x58
	s_load_b64 s[12:13], s[0:1], 0x68
	v_mov_b32_e32 v1, 0
	s_wait_kmcnt 0x0
	s_mul_u64 s[2:3], s[20:21], s[14:15]
	s_mul_u64 s[10:11], s[22:23], s[18:19]
	;; [unrolled: 1-line block ×3, first 2 shown]
	s_mov_b32 s22, exec_lo
	v_cmpx_gt_u32_e64 s14, v0
	s_cbranch_execz .LBB8_4
; %bb.2:
	s_clause 0x2
	s_load_b32 s20, s[0:1], 0x7c
	s_load_b64 s[28:29], s[0:1], 0x48
	s_load_b128 s[24:27], s[0:1], 0x38
	s_lshl_b64 s[30:31], s[12:13], 1
	s_lshl_b64 s[34:35], s[10:11], 1
	;; [unrolled: 1-line block ×3, first 2 shown]
	s_add_nc_u64 s[30:31], s[30:31], s[34:35]
	v_dual_mov_b32 v5, v1 :: v_dual_lshlrev_b32 v4, 1, v0
	v_mov_b64_e32 v[6:7], v[0:1]
	s_mov_b32 s21, 0
	s_wait_kmcnt 0x0
	s_and_b32 s20, s20, 0xffff
	s_mul_u64 s[16:17], s[28:29], s[16:17]
	s_mul_u64 s[18:19], s[26:27], s[18:19]
	s_lshl_b64 s[16:17], s[16:17], 1
	s_lshl_b64 s[18:19], s[18:19], 1
	s_mul_u64 s[24:25], s[24:25], s[14:15]
	s_add_nc_u64 s[16:17], s[16:17], s[18:19]
	s_lshl_b64 s[18:19], s[24:25], 1
	s_add_nc_u64 s[24:25], s[30:31], s[36:37]
	s_add_nc_u64 s[16:17], s[16:17], s[18:19]
	;; [unrolled: 1-line block ×4, first 2 shown]
	v_add_nc_u64_e32 v[2:3], s[18:19], v[4:5]
	v_add_nc_u64_e32 v[4:5], s[4:5], v[4:5]
	s_lshl_b32 s4, s20, 1
	s_mov_b32 s5, s21
	s_mov_b64 s[16:17], 0
	s_mov_b32 s18, s21
.LBB8_3:                                ; =>This Inner Loop Header: Depth=1
	s_delay_alu instid0(VALU_DEP_1)
	v_add_nc_u64_e32 v[8:9], s[16:17], v[4:5]
	v_add_nc_u64_e32 v[6:7], s[20:21], v[6:7]
	global_load_u16 v10, v[8:9], off
	v_cmp_le_u64_e32 vcc_lo, s[14:15], v[6:7]
	s_wait_xcnt 0x0
	v_add_nc_u64_e32 v[8:9], s[16:17], v[2:3]
	s_add_nc_u64 s[16:17], s[16:17], s[4:5]
	s_or_b32 s18, vcc_lo, s18
	s_wait_loadcnt 0x0
	global_store_b16 v[8:9], v10, off
	s_wait_xcnt 0x0
	s_and_not1_b32 exec_lo, exec_lo, s18
	s_cbranch_execnz .LBB8_3
.LBB8_4:
	s_or_b32 exec_lo, exec_lo, s22
	v_add_nc_u64_e32 v[0:1], s[14:15], v[0:1]
	s_mov_b32 s4, exec_lo
	s_delay_alu instid0(VALU_DEP_1)
	v_cmpx_gt_i64_e64 s[8:9], v[0:1]
	s_cbranch_execz .LBB8_12
; %bb.5:
	v_add_nc_u64_e32 v[2:3], 1, v[0:1]
	s_load_b32 s0, s[0:1], 0x7c
	s_mov_b32 s4, -1
	s_delay_alu instid0(VALU_DEP_1) | instskip(SKIP_2) | instid1(SALU_CYCLE_1)
	v_max_i64 v[2:3], s[8:9], v[2:3]
	s_wait_kmcnt 0x0
	s_and_b32 s0, s0, 0xffff
	s_cmp_eq_u32 s0, 1
	s_cselect_b32 s1, -1, 0
	s_delay_alu instid0(VALU_DEP_1) | instskip(NEXT) | instid1(VALU_DEP_1)
	v_sub_nc_u64_e32 v[2:3], v[2:3], v[0:1]
	v_cmp_lt_u64_e32 vcc_lo, 3, v[2:3]
	s_and_b32 s5, vcc_lo, s1
	s_delay_alu instid0(SALU_CYCLE_1)
	s_and_saveexec_b32 s1, s5
	s_cbranch_execz .LBB8_9
; %bb.6:
	s_lshl_b64 s[4:5], s[2:3], 1
	v_dual_mov_b32 v6, 0 :: v_dual_bitop2_b32 v4, -4, v2 bitop3:0x40
	v_mov_b32_e32 v5, v3
	s_lshl_b64 s[14:15], s[10:11], 1
	s_add_nc_u64 s[4:5], s[6:7], s[4:5]
	s_lshl_b64 s[16:17], s[12:13], 1
	s_add_nc_u64 s[4:5], s[4:5], s[14:15]
	v_mov_b32_e32 v7, v6
	s_add_nc_u64 s[4:5], s[4:5], s[16:17]
	v_mov_b64_e32 v[10:11], v[4:5]
	v_lshl_add_u64 v[8:9], v[0:1], 1, s[4:5]
	s_mov_b32 s4, 0
.LBB8_7:                                ; =>This Inner Loop Header: Depth=1
	s_delay_alu instid0(VALU_DEP_2)
	v_add_nc_u64_e32 v[10:11], -4, v[10:11]
	global_store_b64 v[8:9], v[6:7], off
	s_wait_xcnt 0x0
	v_add_nc_u64_e32 v[8:9], 8, v[8:9]
	v_cmp_eq_u64_e32 vcc_lo, 0, v[10:11]
	s_or_b32 s4, vcc_lo, s4
	s_delay_alu instid0(SALU_CYCLE_1)
	s_and_not1_b32 exec_lo, exec_lo, s4
	s_cbranch_execnz .LBB8_7
; %bb.8:
	s_or_b32 exec_lo, exec_lo, s4
	v_cmp_ne_u64_e32 vcc_lo, v[2:3], v[4:5]
	v_add_nc_u64_e32 v[0:1], v[0:1], v[4:5]
	s_or_not1_b32 s4, vcc_lo, exec_lo
.LBB8_9:
	s_or_b32 exec_lo, exec_lo, s1
	s_delay_alu instid0(SALU_CYCLE_1)
	s_and_b32 exec_lo, exec_lo, s4
	s_cbranch_execz .LBB8_12
; %bb.10:
	s_lshl_b64 s[4:5], s[12:13], 1
	s_lshl_b64 s[10:11], s[10:11], 1
	;; [unrolled: 1-line block ×3, first 2 shown]
	s_add_nc_u64 s[4:5], s[4:5], s[10:11]
	v_mov_b32_e32 v4, 0
	s_add_nc_u64 s[2:3], s[4:5], s[2:3]
	s_mov_b32 s1, 0
	s_add_nc_u64 s[2:3], s[6:7], s[2:3]
	s_mov_b32 s4, s1
	v_lshl_add_u64 v[2:3], v[0:1], 1, s[2:3]
	s_lshl_b32 s2, s0, 1
	s_mov_b32 s3, s1
.LBB8_11:                               ; =>This Inner Loop Header: Depth=1
	v_add_nc_u64_e32 v[0:1], s[0:1], v[0:1]
	global_store_b16 v[2:3], v4, off
	s_wait_xcnt 0x0
	v_add_nc_u64_e32 v[2:3], s[2:3], v[2:3]
	v_cmp_le_i64_e32 vcc_lo, s[8:9], v[0:1]
	s_or_b32 s4, vcc_lo, s4
	s_delay_alu instid0(SALU_CYCLE_1)
	s_and_not1_b32 exec_lo, exec_lo, s4
	s_cbranch_execnz .LBB8_11
.LBB8_12:
	s_endpgm
	.section	.rodata,"a",@progbits
	.p2align	6, 0x0
	.amdhsa_kernel _ZL10tri_kernelI14__hip_bfloat16Lb1ELi0EEvPKT_PS1_llllllllllll
		.amdhsa_group_segment_fixed_size 0
		.amdhsa_private_segment_fixed_size 0
		.amdhsa_kernarg_size 368
		.amdhsa_user_sgpr_count 2
		.amdhsa_user_sgpr_dispatch_ptr 0
		.amdhsa_user_sgpr_queue_ptr 0
		.amdhsa_user_sgpr_kernarg_segment_ptr 1
		.amdhsa_user_sgpr_dispatch_id 0
		.amdhsa_user_sgpr_kernarg_preload_length 0
		.amdhsa_user_sgpr_kernarg_preload_offset 0
		.amdhsa_user_sgpr_private_segment_size 0
		.amdhsa_wavefront_size32 1
		.amdhsa_uses_dynamic_stack 0
		.amdhsa_enable_private_segment 0
		.amdhsa_system_sgpr_workgroup_id_x 1
		.amdhsa_system_sgpr_workgroup_id_y 1
		.amdhsa_system_sgpr_workgroup_id_z 1
		.amdhsa_system_sgpr_workgroup_info 0
		.amdhsa_system_vgpr_workitem_id 0
		.amdhsa_next_free_vgpr 12
		.amdhsa_next_free_sgpr 38
		.amdhsa_named_barrier_count 0
		.amdhsa_reserve_vcc 1
		.amdhsa_float_round_mode_32 0
		.amdhsa_float_round_mode_16_64 0
		.amdhsa_float_denorm_mode_32 3
		.amdhsa_float_denorm_mode_16_64 3
		.amdhsa_fp16_overflow 0
		.amdhsa_memory_ordered 1
		.amdhsa_forward_progress 1
		.amdhsa_inst_pref_size 7
		.amdhsa_round_robin_scheduling 0
		.amdhsa_exception_fp_ieee_invalid_op 0
		.amdhsa_exception_fp_denorm_src 0
		.amdhsa_exception_fp_ieee_div_zero 0
		.amdhsa_exception_fp_ieee_overflow 0
		.amdhsa_exception_fp_ieee_underflow 0
		.amdhsa_exception_fp_ieee_inexact 0
		.amdhsa_exception_int_div_zero 0
	.end_amdhsa_kernel
	.section	.text._ZL10tri_kernelI14__hip_bfloat16Lb1ELi0EEvPKT_PS1_llllllllllll,"axG",@progbits,_ZL10tri_kernelI14__hip_bfloat16Lb1ELi0EEvPKT_PS1_llllllllllll,comdat
.Lfunc_end8:
	.size	_ZL10tri_kernelI14__hip_bfloat16Lb1ELi0EEvPKT_PS1_llllllllllll, .Lfunc_end8-_ZL10tri_kernelI14__hip_bfloat16Lb1ELi0EEvPKT_PS1_llllllllllll
                                        ; -- End function
	.set _ZL10tri_kernelI14__hip_bfloat16Lb1ELi0EEvPKT_PS1_llllllllllll.num_vgpr, 12
	.set _ZL10tri_kernelI14__hip_bfloat16Lb1ELi0EEvPKT_PS1_llllllllllll.num_agpr, 0
	.set _ZL10tri_kernelI14__hip_bfloat16Lb1ELi0EEvPKT_PS1_llllllllllll.numbered_sgpr, 38
	.set _ZL10tri_kernelI14__hip_bfloat16Lb1ELi0EEvPKT_PS1_llllllllllll.num_named_barrier, 0
	.set _ZL10tri_kernelI14__hip_bfloat16Lb1ELi0EEvPKT_PS1_llllllllllll.private_seg_size, 0
	.set _ZL10tri_kernelI14__hip_bfloat16Lb1ELi0EEvPKT_PS1_llllllllllll.uses_vcc, 1
	.set _ZL10tri_kernelI14__hip_bfloat16Lb1ELi0EEvPKT_PS1_llllllllllll.uses_flat_scratch, 0
	.set _ZL10tri_kernelI14__hip_bfloat16Lb1ELi0EEvPKT_PS1_llllllllllll.has_dyn_sized_stack, 0
	.set _ZL10tri_kernelI14__hip_bfloat16Lb1ELi0EEvPKT_PS1_llllllllllll.has_recursion, 0
	.set _ZL10tri_kernelI14__hip_bfloat16Lb1ELi0EEvPKT_PS1_llllllllllll.has_indirect_call, 0
	.section	.AMDGPU.csdata,"",@progbits
; Kernel info:
; codeLenInByte = 804
; TotalNumSgprs: 40
; NumVgprs: 12
; ScratchSize: 0
; MemoryBound: 0
; FloatMode: 240
; IeeeMode: 1
; LDSByteSize: 0 bytes/workgroup (compile time only)
; SGPRBlocks: 0
; VGPRBlocks: 0
; NumSGPRsForWavesPerEU: 40
; NumVGPRsForWavesPerEU: 12
; NamedBarCnt: 0
; Occupancy: 16
; WaveLimiterHint : 0
; COMPUTE_PGM_RSRC2:SCRATCH_EN: 0
; COMPUTE_PGM_RSRC2:USER_SGPR: 2
; COMPUTE_PGM_RSRC2:TRAP_HANDLER: 0
; COMPUTE_PGM_RSRC2:TGID_X_EN: 1
; COMPUTE_PGM_RSRC2:TGID_Y_EN: 1
; COMPUTE_PGM_RSRC2:TGID_Z_EN: 1
; COMPUTE_PGM_RSRC2:TIDIG_COMP_CNT: 0
	.section	.text._ZL10tri_kernelI14__hip_bfloat16Lb1ELi1EEvPKT_PS1_llllllllllll,"axG",@progbits,_ZL10tri_kernelI14__hip_bfloat16Lb1ELi1EEvPKT_PS1_llllllllllll,comdat
	.globl	_ZL10tri_kernelI14__hip_bfloat16Lb1ELi1EEvPKT_PS1_llllllllllll ; -- Begin function _ZL10tri_kernelI14__hip_bfloat16Lb1ELi1EEvPKT_PS1_llllllllllll
	.p2align	8
	.type	_ZL10tri_kernelI14__hip_bfloat16Lb1ELi1EEvPKT_PS1_llllllllllll,@function
_ZL10tri_kernelI14__hip_bfloat16Lb1ELi1EEvPKT_PS1_llllllllllll: ; @_ZL10tri_kernelI14__hip_bfloat16Lb1ELi1EEvPKT_PS1_llllllllllll
; %bb.0:
	s_clause 0x1
	s_load_b128 s[20:23], s[0:1], 0x20
	s_load_b256 s[4:11], s[0:1], 0x0
	s_bfe_u32 s2, ttmp6, 0x4000c
	s_bfe_u32 s12, ttmp6, 0x40010
	s_add_co_i32 s2, s2, 1
	s_and_b32 s3, ttmp6, 15
	s_mul_i32 s2, ttmp9, s2
	s_and_b32 s13, ttmp7, 0xffff
	s_add_co_i32 s12, s12, 1
	s_bfe_u32 s14, ttmp6, 0x40014
	s_add_co_i32 s3, s3, s2
	s_mul_i32 s2, s13, s12
	s_bfe_u32 s12, ttmp6, 0x40004
	s_lshr_b32 s15, ttmp7, 16
	s_add_co_i32 s14, s14, 1
	s_add_co_i32 s12, s12, s2
	s_mul_i32 s2, s15, s14
	s_bfe_u32 s14, ttmp6, 0x40008
	s_getreg_b32 s16, hwreg(HW_REG_IB_STS2, 6, 4)
	s_add_co_i32 s14, s14, s2
	s_cmp_eq_u32 s16, 0
	s_mov_b32 s17, 0
	s_cselect_b32 s16, s15, s14
	s_cselect_b32 s18, s13, s12
	s_mov_b32 s19, s17
	s_cselect_b32 s14, ttmp9, s3
	s_mov_b32 s15, s17
	s_wait_kmcnt 0x0
	v_cmp_le_i64_e64 s2, s[22:23], s[16:17]
	v_cmp_le_i64_e64 s3, s[20:21], s[18:19]
	;; [unrolled: 1-line block ×3, first 2 shown]
	s_or_b32 s2, s3, s2
	s_delay_alu instid0(SALU_CYCLE_1) | instskip(NEXT) | instid1(SALU_CYCLE_1)
	s_or_b32 s2, s10, s2
	s_and_b32 vcc_lo, exec_lo, s2
	s_cbranch_vccnz .LBB9_14
; %bb.1:
	s_clause 0x1
	s_load_b64 s[2:3], s[0:1], 0x68
	s_load_b128 s[20:23], s[0:1], 0x58
	v_mov_b32_e32 v1, 0
	s_wait_kmcnt 0x0
	s_mul_u64 s[10:11], s[2:3], s[16:17]
	s_mul_u64 s[12:13], s[22:23], s[18:19]
	;; [unrolled: 1-line block ×3, first 2 shown]
	s_mov_b32 s22, exec_lo
	v_cmpx_ge_u32_e64 s14, v0
	s_cbranch_execz .LBB9_4
; %bb.2:
	s_clause 0x2
	s_load_b32 s20, s[0:1], 0x7c
	s_load_b64 s[28:29], s[0:1], 0x48
	s_load_b128 s[24:27], s[0:1], 0x38
	s_lshl_b64 s[30:31], s[10:11], 1
	s_lshl_b64 s[34:35], s[12:13], 1
	;; [unrolled: 1-line block ×3, first 2 shown]
	s_add_nc_u64 s[30:31], s[30:31], s[34:35]
	v_dual_mov_b32 v5, v1 :: v_dual_lshlrev_b32 v4, 1, v0
	v_mov_b64_e32 v[6:7], v[0:1]
	s_mov_b32 s21, 0
	s_wait_kmcnt 0x0
	s_and_b32 s20, s20, 0xffff
	s_mul_u64 s[16:17], s[28:29], s[16:17]
	s_mul_u64 s[18:19], s[26:27], s[18:19]
	s_lshl_b64 s[16:17], s[16:17], 1
	s_lshl_b64 s[18:19], s[18:19], 1
	s_mul_u64 s[24:25], s[24:25], s[14:15]
	s_add_nc_u64 s[16:17], s[16:17], s[18:19]
	s_lshl_b64 s[18:19], s[24:25], 1
	s_add_nc_u64 s[24:25], s[30:31], s[36:37]
	s_add_nc_u64 s[16:17], s[16:17], s[18:19]
	;; [unrolled: 1-line block ×4, first 2 shown]
	v_add_nc_u64_e32 v[2:3], s[18:19], v[4:5]
	v_add_nc_u64_e32 v[4:5], s[4:5], v[4:5]
	s_lshl_b32 s4, s20, 1
	s_mov_b32 s5, s21
	s_mov_b64 s[16:17], 0
	s_mov_b32 s18, s21
.LBB9_3:                                ; =>This Inner Loop Header: Depth=1
	s_delay_alu instid0(VALU_DEP_1)
	v_add_nc_u64_e32 v[8:9], s[16:17], v[4:5]
	v_add_nc_u64_e32 v[6:7], s[20:21], v[6:7]
	global_load_u16 v10, v[8:9], off
	v_cmp_lt_u64_e32 vcc_lo, s[14:15], v[6:7]
	s_wait_xcnt 0x0
	v_add_nc_u64_e32 v[8:9], s[16:17], v[2:3]
	s_add_nc_u64 s[16:17], s[16:17], s[4:5]
	s_or_b32 s18, vcc_lo, s18
	s_wait_loadcnt 0x0
	global_store_b16 v[8:9], v10, off
	s_wait_xcnt 0x0
	s_and_not1_b32 exec_lo, exec_lo, s18
	s_cbranch_execnz .LBB9_3
.LBB9_4:
	s_or_b32 exec_lo, exec_lo, s22
	s_add_nc_u64 s[4:5], s[14:15], 1
	s_delay_alu instid0(SALU_CYCLE_1) | instskip(SKIP_1) | instid1(VALU_DEP_1)
	v_add_nc_u64_e32 v[2:3], s[4:5], v[0:1]
	s_mov_b32 s4, exec_lo
	v_cmpx_gt_i64_e64 s[8:9], v[2:3]
	s_cbranch_execz .LBB9_14
; %bb.5:
	v_add_nc_u64_e32 v[4:5], s[14:15], v[0:1]
	s_load_b32 s0, s[0:1], 0x7c
                                        ; implicit-def: $sgpr4_sgpr5
	s_delay_alu instid0(VALU_DEP_1) | instskip(SKIP_2) | instid1(VALU_DEP_3)
	v_add_nc_u64_e32 v[0:1], 2, v[4:5]
	v_not_b32_e32 v7, v5
	v_not_b32_e32 v6, v4
	v_max_i64 v[0:1], s[8:9], v[0:1]
	s_wait_kmcnt 0x0
	s_and_b32 s0, s0, 0xffff
	s_delay_alu instid0(SALU_CYCLE_1) | instskip(SKIP_1) | instid1(VALU_DEP_1)
	s_cmp_lg_u32 s0, 1
	s_cselect_b32 s1, -1, 0
	v_add_nc_u64_e32 v[0:1], v[0:1], v[6:7]
	s_delay_alu instid0(VALU_DEP_1) | instskip(SKIP_3) | instid1(SALU_CYCLE_1)
	v_cmp_gt_u64_e32 vcc_lo, 4, v[0:1]
	s_or_b32 s14, vcc_lo, s1
	s_mov_b32 s1, 0
	s_and_saveexec_b32 s15, s14
	s_xor_b32 s14, exec_lo, s15
	s_cbranch_execnz .LBB9_8
; %bb.6:
	s_or_saveexec_b32 s14, s14
	v_mov_b64_e32 v[6:7], s[4:5]
	s_xor_b32 exec_lo, exec_lo, s14
	s_cbranch_execnz .LBB9_9
.LBB9_7:
	s_or_b32 exec_lo, exec_lo, s14
	s_delay_alu instid0(SALU_CYCLE_1)
	s_and_b32 exec_lo, exec_lo, s1
	s_cbranch_execnz .LBB9_12
	s_branch .LBB9_14
.LBB9_8:
	s_lshl_b64 s[4:5], s[10:11], 1
	s_lshl_b64 s[16:17], s[12:13], 1
	s_mov_b32 s1, exec_lo
	s_add_nc_u64 s[4:5], s[4:5], s[16:17]
	s_lshl_b64 s[16:17], s[2:3], 1
                                        ; implicit-def: $vgpr0_vgpr1
                                        ; implicit-def: $vgpr4_vgpr5
	s_delay_alu instid0(SALU_CYCLE_1)
	s_add_nc_u64 s[4:5], s[4:5], s[16:17]
	s_or_saveexec_b32 s14, s14
	v_mov_b64_e32 v[6:7], s[4:5]
	s_xor_b32 exec_lo, exec_lo, s14
	s_cbranch_execz .LBB9_7
.LBB9_9:
	s_lshl_b64 s[4:5], s[10:11], 1
	s_lshl_b64 s[10:11], s[12:13], 1
	;; [unrolled: 1-line block ×3, first 2 shown]
	s_add_nc_u64 s[4:5], s[4:5], s[10:11]
	v_and_b32_e32 v6, -4, v0
	s_add_nc_u64 s[2:3], s[4:5], s[2:3]
	s_delay_alu instid0(SALU_CYCLE_1) | instskip(NEXT) | instid1(SALU_CYCLE_1)
	s_add_nc_u64 s[4:5], s[6:7], s[2:3]
	v_lshl_add_u64 v[8:9], v[4:5], 1, s[4:5]
	v_dual_mov_b32 v4, 0 :: v_dual_mov_b32 v7, v1
	s_mov_b32 s4, 0
	s_delay_alu instid0(VALU_DEP_2) | instskip(NEXT) | instid1(VALU_DEP_2)
	v_add_nc_u64_e32 v[8:9], 2, v[8:9]
	v_mov_b32_e32 v5, v4
	s_delay_alu instid0(VALU_DEP_3)
	v_mov_b64_e32 v[10:11], v[6:7]
.LBB9_10:                               ; =>This Inner Loop Header: Depth=1
	s_delay_alu instid0(VALU_DEP_1)
	v_add_nc_u64_e32 v[10:11], -4, v[10:11]
	global_store_b64 v[8:9], v[4:5], off
	s_wait_xcnt 0x0
	v_add_nc_u64_e32 v[8:9], 8, v[8:9]
	v_cmp_eq_u64_e32 vcc_lo, 0, v[10:11]
	s_or_b32 s4, vcc_lo, s4
	s_delay_alu instid0(SALU_CYCLE_1)
	s_and_not1_b32 exec_lo, exec_lo, s4
	s_cbranch_execnz .LBB9_10
; %bb.11:
	s_or_b32 exec_lo, exec_lo, s4
	v_cmp_ne_u64_e32 vcc_lo, v[0:1], v[6:7]
	v_add_nc_u64_e32 v[2:3], v[2:3], v[6:7]
	v_mov_b64_e32 v[6:7], s[2:3]
	s_and_not1_b32 s1, s1, exec_lo
	s_and_b32 s2, vcc_lo, exec_lo
	s_delay_alu instid0(SALU_CYCLE_1) | instskip(SKIP_1) | instid1(SALU_CYCLE_1)
	s_or_b32 s1, s1, s2
	s_or_b32 exec_lo, exec_lo, s14
	s_and_b32 exec_lo, exec_lo, s1
	s_cbranch_execz .LBB9_14
.LBB9_12:
	v_lshl_add_u64 v[0:1], v[2:3], 1, v[6:7]
	v_mov_b32_e32 v4, 0
	s_mov_b32 s1, 0
	s_lshl_b32 s2, s0, 1
	s_mov_b32 s3, s1
	v_add_nc_u64_e32 v[0:1], s[6:7], v[0:1]
	s_mov_b32 s4, s1
.LBB9_13:                               ; =>This Inner Loop Header: Depth=1
	v_add_nc_u64_e32 v[2:3], s[0:1], v[2:3]
	global_store_b16 v[0:1], v4, off
	s_wait_xcnt 0x0
	v_add_nc_u64_e32 v[0:1], s[2:3], v[0:1]
	v_cmp_le_i64_e32 vcc_lo, s[8:9], v[2:3]
	s_or_b32 s4, vcc_lo, s4
	s_delay_alu instid0(SALU_CYCLE_1)
	s_and_not1_b32 exec_lo, exec_lo, s4
	s_cbranch_execnz .LBB9_13
.LBB9_14:
	s_endpgm
	.section	.rodata,"a",@progbits
	.p2align	6, 0x0
	.amdhsa_kernel _ZL10tri_kernelI14__hip_bfloat16Lb1ELi1EEvPKT_PS1_llllllllllll
		.amdhsa_group_segment_fixed_size 0
		.amdhsa_private_segment_fixed_size 0
		.amdhsa_kernarg_size 368
		.amdhsa_user_sgpr_count 2
		.amdhsa_user_sgpr_dispatch_ptr 0
		.amdhsa_user_sgpr_queue_ptr 0
		.amdhsa_user_sgpr_kernarg_segment_ptr 1
		.amdhsa_user_sgpr_dispatch_id 0
		.amdhsa_user_sgpr_kernarg_preload_length 0
		.amdhsa_user_sgpr_kernarg_preload_offset 0
		.amdhsa_user_sgpr_private_segment_size 0
		.amdhsa_wavefront_size32 1
		.amdhsa_uses_dynamic_stack 0
		.amdhsa_enable_private_segment 0
		.amdhsa_system_sgpr_workgroup_id_x 1
		.amdhsa_system_sgpr_workgroup_id_y 1
		.amdhsa_system_sgpr_workgroup_id_z 1
		.amdhsa_system_sgpr_workgroup_info 0
		.amdhsa_system_vgpr_workitem_id 0
		.amdhsa_next_free_vgpr 12
		.amdhsa_next_free_sgpr 38
		.amdhsa_named_barrier_count 0
		.amdhsa_reserve_vcc 1
		.amdhsa_float_round_mode_32 0
		.amdhsa_float_round_mode_16_64 0
		.amdhsa_float_denorm_mode_32 3
		.amdhsa_float_denorm_mode_16_64 3
		.amdhsa_fp16_overflow 0
		.amdhsa_memory_ordered 1
		.amdhsa_forward_progress 1
		.amdhsa_inst_pref_size 8
		.amdhsa_round_robin_scheduling 0
		.amdhsa_exception_fp_ieee_invalid_op 0
		.amdhsa_exception_fp_denorm_src 0
		.amdhsa_exception_fp_ieee_div_zero 0
		.amdhsa_exception_fp_ieee_overflow 0
		.amdhsa_exception_fp_ieee_underflow 0
		.amdhsa_exception_fp_ieee_inexact 0
		.amdhsa_exception_int_div_zero 0
	.end_amdhsa_kernel
	.section	.text._ZL10tri_kernelI14__hip_bfloat16Lb1ELi1EEvPKT_PS1_llllllllllll,"axG",@progbits,_ZL10tri_kernelI14__hip_bfloat16Lb1ELi1EEvPKT_PS1_llllllllllll,comdat
.Lfunc_end9:
	.size	_ZL10tri_kernelI14__hip_bfloat16Lb1ELi1EEvPKT_PS1_llllllllllll, .Lfunc_end9-_ZL10tri_kernelI14__hip_bfloat16Lb1ELi1EEvPKT_PS1_llllllllllll
                                        ; -- End function
	.set _ZL10tri_kernelI14__hip_bfloat16Lb1ELi1EEvPKT_PS1_llllllllllll.num_vgpr, 12
	.set _ZL10tri_kernelI14__hip_bfloat16Lb1ELi1EEvPKT_PS1_llllllllllll.num_agpr, 0
	.set _ZL10tri_kernelI14__hip_bfloat16Lb1ELi1EEvPKT_PS1_llllllllllll.numbered_sgpr, 38
	.set _ZL10tri_kernelI14__hip_bfloat16Lb1ELi1EEvPKT_PS1_llllllllllll.num_named_barrier, 0
	.set _ZL10tri_kernelI14__hip_bfloat16Lb1ELi1EEvPKT_PS1_llllllllllll.private_seg_size, 0
	.set _ZL10tri_kernelI14__hip_bfloat16Lb1ELi1EEvPKT_PS1_llllllllllll.uses_vcc, 1
	.set _ZL10tri_kernelI14__hip_bfloat16Lb1ELi1EEvPKT_PS1_llllllllllll.uses_flat_scratch, 0
	.set _ZL10tri_kernelI14__hip_bfloat16Lb1ELi1EEvPKT_PS1_llllllllllll.has_dyn_sized_stack, 0
	.set _ZL10tri_kernelI14__hip_bfloat16Lb1ELi1EEvPKT_PS1_llllllllllll.has_recursion, 0
	.set _ZL10tri_kernelI14__hip_bfloat16Lb1ELi1EEvPKT_PS1_llllllllllll.has_indirect_call, 0
	.section	.AMDGPU.csdata,"",@progbits
; Kernel info:
; codeLenInByte = 908
; TotalNumSgprs: 40
; NumVgprs: 12
; ScratchSize: 0
; MemoryBound: 0
; FloatMode: 240
; IeeeMode: 1
; LDSByteSize: 0 bytes/workgroup (compile time only)
; SGPRBlocks: 0
; VGPRBlocks: 0
; NumSGPRsForWavesPerEU: 40
; NumVGPRsForWavesPerEU: 12
; NamedBarCnt: 0
; Occupancy: 16
; WaveLimiterHint : 0
; COMPUTE_PGM_RSRC2:SCRATCH_EN: 0
; COMPUTE_PGM_RSRC2:USER_SGPR: 2
; COMPUTE_PGM_RSRC2:TRAP_HANDLER: 0
; COMPUTE_PGM_RSRC2:TGID_X_EN: 1
; COMPUTE_PGM_RSRC2:TGID_Y_EN: 1
; COMPUTE_PGM_RSRC2:TGID_Z_EN: 1
; COMPUTE_PGM_RSRC2:TIDIG_COMP_CNT: 0
	.section	.text._ZL10tri_kernelI14__hip_bfloat16Lb0ELi0EEvPKT_PS1_llllllllllll,"axG",@progbits,_ZL10tri_kernelI14__hip_bfloat16Lb0ELi0EEvPKT_PS1_llllllllllll,comdat
	.globl	_ZL10tri_kernelI14__hip_bfloat16Lb0ELi0EEvPKT_PS1_llllllllllll ; -- Begin function _ZL10tri_kernelI14__hip_bfloat16Lb0ELi0EEvPKT_PS1_llllllllllll
	.p2align	8
	.type	_ZL10tri_kernelI14__hip_bfloat16Lb0ELi0EEvPKT_PS1_llllllllllll,@function
_ZL10tri_kernelI14__hip_bfloat16Lb0ELi0EEvPKT_PS1_llllllllllll: ; @_ZL10tri_kernelI14__hip_bfloat16Lb0ELi0EEvPKT_PS1_llllllllllll
; %bb.0:
	s_clause 0x1
	s_load_b128 s[12:15], s[0:1], 0x20
	s_load_b256 s[4:11], s[0:1], 0x0
	s_bfe_u32 s2, ttmp6, 0x4000c
	s_bfe_u32 s16, ttmp6, 0x40010
	s_add_co_i32 s2, s2, 1
	s_and_b32 s3, ttmp6, 15
	s_mul_i32 s2, ttmp9, s2
	s_and_b32 s18, ttmp7, 0xffff
	s_add_co_i32 s16, s16, 1
	s_bfe_u32 s17, ttmp6, 0x40014
	s_add_co_i32 s3, s3, s2
	s_mul_i32 s2, s18, s16
	s_bfe_u32 s16, ttmp6, 0x40004
	s_lshr_b32 s19, ttmp7, 16
	s_add_co_i32 s17, s17, 1
	s_add_co_i32 s2, s16, s2
	s_mul_i32 s16, s19, s17
	s_bfe_u32 s17, ttmp6, 0x40008
	s_getreg_b32 s20, hwreg(HW_REG_IB_STS2, 6, 4)
	s_add_co_i32 s16, s17, s16
	s_cmp_eq_u32 s20, 0
	s_mov_b32 s17, 0
	s_cselect_b32 s16, s19, s16
	s_cselect_b32 s18, s18, s2
	s_mov_b32 s19, s17
	s_cselect_b32 s2, ttmp9, s3
	s_mov_b32 s3, s17
	s_wait_kmcnt 0x0
	v_cmp_le_i64_e64 s14, s[14:15], s[16:17]
	v_cmp_le_i64_e64 s12, s[12:13], s[18:19]
	;; [unrolled: 1-line block ×3, first 2 shown]
	s_or_b32 s11, s12, s14
	s_delay_alu instid0(SALU_CYCLE_1) | instskip(NEXT) | instid1(SALU_CYCLE_1)
	s_or_b32 s10, s10, s11
	s_and_b32 vcc_lo, exec_lo, s10
	s_cbranch_vccnz .LBB10_12
; %bb.1:
	s_clause 0x1
	s_load_b128 s[12:15], s[0:1], 0x58
	s_load_b64 s[20:21], s[0:1], 0x68
	v_mov_b32_e32 v1, 0
	s_mov_b32 s24, exec_lo
	s_wait_kmcnt 0x0
	s_mul_u64 s[10:11], s[14:15], s[18:19]
	s_mul_u64 s[14:15], s[20:21], s[16:17]
	v_cmpx_gt_u32_e64 s2, v0
	s_cbranch_execz .LBB10_9
; %bb.2:
	v_dual_mov_b32 v3, v1 :: v_dual_add_nc_u32 v2, 1, v0
	s_load_b32 s20, s[0:1], 0x7c
	v_mov_b64_e32 v[4:5], v[0:1]
	s_mul_u64 s[22:23], s[12:13], s[2:3]
	s_mov_b32 s25, -1
	v_max_u64 v[2:3], v[2:3], s[2:3]
	s_wait_kmcnt 0x0
	s_and_b32 s20, s20, 0xffff
	s_delay_alu instid0(SALU_CYCLE_1) | instskip(SKIP_1) | instid1(VALU_DEP_1)
	s_cmp_eq_u32 s20, 1
	s_cselect_b32 s21, -1, 0
	v_sub_nc_u64_e32 v[2:3], v[2:3], v[0:1]
	s_delay_alu instid0(VALU_DEP_1) | instskip(SKIP_1) | instid1(SALU_CYCLE_1)
	v_cmp_lt_u64_e32 vcc_lo, 3, v[2:3]
	s_and_b32 s26, vcc_lo, s21
	s_and_saveexec_b32 s21, s26
	s_cbranch_execz .LBB10_6
; %bb.3:
	s_lshl_b64 s[26:27], s[22:23], 1
	s_lshl_b64 s[28:29], s[10:11], 1
	s_add_nc_u64 s[26:27], s[6:7], s[26:27]
	v_dual_mov_b32 v7, 0 :: v_dual_lshlrev_b32 v6, 1, v0
	v_dual_mov_b32 v5, v3 :: v_dual_bitop2_b32 v4, -4, v2 bitop3:0x40
	s_lshl_b64 s[30:31], s[14:15], 1
	s_add_nc_u64 s[26:27], s[26:27], s[28:29]
	s_mov_b32 s25, 0
	s_add_nc_u64 s[26:27], s[26:27], s[30:31]
	v_mov_b64_e32 v[10:11], v[4:5]
	v_add_nc_u64_e32 v[8:9], s[26:27], v[6:7]
	v_mov_b32_e32 v6, v7
.LBB10_4:                               ; =>This Inner Loop Header: Depth=1
	s_delay_alu instid0(VALU_DEP_3)
	v_add_nc_u64_e32 v[10:11], -4, v[10:11]
	global_store_b64 v[8:9], v[6:7], off
	s_wait_xcnt 0x0
	v_add_nc_u64_e32 v[8:9], 8, v[8:9]
	v_cmp_eq_u64_e32 vcc_lo, 0, v[10:11]
	s_or_b32 s25, vcc_lo, s25
	s_delay_alu instid0(SALU_CYCLE_1)
	s_and_not1_b32 exec_lo, exec_lo, s25
	s_cbranch_execnz .LBB10_4
; %bb.5:
	s_or_b32 exec_lo, exec_lo, s25
	v_cmp_ne_u64_e32 vcc_lo, v[2:3], v[4:5]
	v_add_nc_u64_e32 v[4:5], v[4:5], v[0:1]
	s_or_not1_b32 s25, vcc_lo, exec_lo
.LBB10_6:
	s_or_b32 exec_lo, exec_lo, s21
	s_delay_alu instid0(SALU_CYCLE_1)
	s_and_b32 exec_lo, exec_lo, s25
	s_cbranch_execz .LBB10_9
; %bb.7:
	s_lshl_b64 s[26:27], s[14:15], 1
	s_lshl_b64 s[28:29], s[10:11], 1
	;; [unrolled: 1-line block ×3, first 2 shown]
	s_add_nc_u64 s[26:27], s[26:27], s[28:29]
	v_mov_b32_e32 v6, 0
	s_add_nc_u64 s[22:23], s[26:27], s[22:23]
	s_mov_b32 s21, 0
	s_add_nc_u64 s[22:23], s[6:7], s[22:23]
	s_mov_b32 s25, s21
	v_lshl_add_u64 v[2:3], v[4:5], 1, s[22:23]
	s_lshl_b32 s22, s20, 1
	s_mov_b32 s23, s21
.LBB10_8:                               ; =>This Inner Loop Header: Depth=1
	v_add_nc_u64_e32 v[4:5], s[20:21], v[4:5]
	global_store_b16 v[2:3], v6, off
	s_wait_xcnt 0x0
	v_add_nc_u64_e32 v[2:3], s[22:23], v[2:3]
	v_cmp_le_u64_e32 vcc_lo, s[2:3], v[4:5]
	s_or_b32 s25, vcc_lo, s25
	s_delay_alu instid0(SALU_CYCLE_1)
	s_and_not1_b32 exec_lo, exec_lo, s25
	s_cbranch_execnz .LBB10_8
.LBB10_9:
	s_or_b32 exec_lo, exec_lo, s24
	v_add_nc_u64_e32 v[2:3], s[2:3], v[0:1]
	s_mov_b32 s20, exec_lo
	s_delay_alu instid0(VALU_DEP_1)
	v_cmpx_gt_i64_e64 s[8:9], v[2:3]
	s_cbranch_execz .LBB10_12
; %bb.10:
	s_clause 0x2
	s_load_b32 s26, s[0:1], 0x7c
	s_load_b64 s[24:25], s[0:1], 0x48
	s_load_b128 s[20:23], s[0:1], 0x38
	s_wait_xcnt 0x0
	s_lshl_b64 s[0:1], s[14:15], 1
	s_lshl_b64 s[12:13], s[12:13], 1
	;; [unrolled: 1-line block ×3, first 2 shown]
	s_add_nc_u64 s[12:13], s[12:13], 2
	s_add_nc_u64 s[10:11], s[0:1], s[10:11]
	s_mul_u64 s[12:13], s[12:13], s[2:3]
	v_dual_mov_b32 v5, 0 :: v_dual_lshlrev_b32 v4, 1, v0
	s_add_nc_u64 s[10:11], s[10:11], s[12:13]
	s_mov_b32 s1, 0
	s_add_nc_u64 s[6:7], s[6:7], s[10:11]
	s_delay_alu instid0(VALU_DEP_1) | instid1(SALU_CYCLE_1)
	v_add_nc_u64_e32 v[0:1], s[6:7], v[4:5]
	s_mov_b32 s6, s1
	s_wait_kmcnt 0x0
	s_and_b32 s0, s26, 0xffff
	s_mul_u64 s[14:15], s[24:25], s[16:17]
	s_mul_u64 s[16:17], s[22:23], s[18:19]
	s_lshl_b64 s[18:19], s[20:21], 1
	s_lshl_b64 s[14:15], s[14:15], 1
	;; [unrolled: 1-line block ×3, first 2 shown]
	s_add_nc_u64 s[18:19], s[18:19], 2
	s_add_nc_u64 s[14:15], s[14:15], s[16:17]
	s_mul_u64 s[2:3], s[18:19], s[2:3]
	s_delay_alu instid0(SALU_CYCLE_1) | instskip(NEXT) | instid1(SALU_CYCLE_1)
	s_add_nc_u64 s[2:3], s[14:15], s[2:3]
	s_add_nc_u64 s[2:3], s[4:5], s[2:3]
	s_mov_b64 s[4:5], 0
	v_add_nc_u64_e32 v[4:5], s[2:3], v[4:5]
	s_lshl_b32 s2, s0, 1
	s_mov_b32 s3, s1
.LBB10_11:                              ; =>This Inner Loop Header: Depth=1
	s_delay_alu instid0(VALU_DEP_1)
	v_add_nc_u64_e32 v[6:7], s[4:5], v[4:5]
	v_add_nc_u64_e32 v[2:3], s[0:1], v[2:3]
	global_load_u16 v8, v[6:7], off
	v_cmp_le_i64_e32 vcc_lo, s[8:9], v[2:3]
	s_wait_xcnt 0x0
	v_add_nc_u64_e32 v[6:7], s[4:5], v[0:1]
	s_add_nc_u64 s[4:5], s[4:5], s[2:3]
	s_or_b32 s6, vcc_lo, s6
	s_wait_loadcnt 0x0
	global_store_b16 v[6:7], v8, off
	s_wait_xcnt 0x0
	s_and_not1_b32 exec_lo, exec_lo, s6
	s_cbranch_execnz .LBB10_11
.LBB10_12:
	s_endpgm
	.section	.rodata,"a",@progbits
	.p2align	6, 0x0
	.amdhsa_kernel _ZL10tri_kernelI14__hip_bfloat16Lb0ELi0EEvPKT_PS1_llllllllllll
		.amdhsa_group_segment_fixed_size 0
		.amdhsa_private_segment_fixed_size 0
		.amdhsa_kernarg_size 368
		.amdhsa_user_sgpr_count 2
		.amdhsa_user_sgpr_dispatch_ptr 0
		.amdhsa_user_sgpr_queue_ptr 0
		.amdhsa_user_sgpr_kernarg_segment_ptr 1
		.amdhsa_user_sgpr_dispatch_id 0
		.amdhsa_user_sgpr_kernarg_preload_length 0
		.amdhsa_user_sgpr_kernarg_preload_offset 0
		.amdhsa_user_sgpr_private_segment_size 0
		.amdhsa_wavefront_size32 1
		.amdhsa_uses_dynamic_stack 0
		.amdhsa_enable_private_segment 0
		.amdhsa_system_sgpr_workgroup_id_x 1
		.amdhsa_system_sgpr_workgroup_id_y 1
		.amdhsa_system_sgpr_workgroup_id_z 1
		.amdhsa_system_sgpr_workgroup_info 0
		.amdhsa_system_vgpr_workitem_id 0
		.amdhsa_next_free_vgpr 12
		.amdhsa_next_free_sgpr 32
		.amdhsa_named_barrier_count 0
		.amdhsa_reserve_vcc 1
		.amdhsa_float_round_mode_32 0
		.amdhsa_float_round_mode_16_64 0
		.amdhsa_float_denorm_mode_32 3
		.amdhsa_float_denorm_mode_16_64 3
		.amdhsa_fp16_overflow 0
		.amdhsa_memory_ordered 1
		.amdhsa_forward_progress 1
		.amdhsa_inst_pref_size 7
		.amdhsa_round_robin_scheduling 0
		.amdhsa_exception_fp_ieee_invalid_op 0
		.amdhsa_exception_fp_denorm_src 0
		.amdhsa_exception_fp_ieee_div_zero 0
		.amdhsa_exception_fp_ieee_overflow 0
		.amdhsa_exception_fp_ieee_underflow 0
		.amdhsa_exception_fp_ieee_inexact 0
		.amdhsa_exception_int_div_zero 0
	.end_amdhsa_kernel
	.section	.text._ZL10tri_kernelI14__hip_bfloat16Lb0ELi0EEvPKT_PS1_llllllllllll,"axG",@progbits,_ZL10tri_kernelI14__hip_bfloat16Lb0ELi0EEvPKT_PS1_llllllllllll,comdat
.Lfunc_end10:
	.size	_ZL10tri_kernelI14__hip_bfloat16Lb0ELi0EEvPKT_PS1_llllllllllll, .Lfunc_end10-_ZL10tri_kernelI14__hip_bfloat16Lb0ELi0EEvPKT_PS1_llllllllllll
                                        ; -- End function
	.set _ZL10tri_kernelI14__hip_bfloat16Lb0ELi0EEvPKT_PS1_llllllllllll.num_vgpr, 12
	.set _ZL10tri_kernelI14__hip_bfloat16Lb0ELi0EEvPKT_PS1_llllllllllll.num_agpr, 0
	.set _ZL10tri_kernelI14__hip_bfloat16Lb0ELi0EEvPKT_PS1_llllllllllll.numbered_sgpr, 32
	.set _ZL10tri_kernelI14__hip_bfloat16Lb0ELi0EEvPKT_PS1_llllllllllll.num_named_barrier, 0
	.set _ZL10tri_kernelI14__hip_bfloat16Lb0ELi0EEvPKT_PS1_llllllllllll.private_seg_size, 0
	.set _ZL10tri_kernelI14__hip_bfloat16Lb0ELi0EEvPKT_PS1_llllllllllll.uses_vcc, 1
	.set _ZL10tri_kernelI14__hip_bfloat16Lb0ELi0EEvPKT_PS1_llllllllllll.uses_flat_scratch, 0
	.set _ZL10tri_kernelI14__hip_bfloat16Lb0ELi0EEvPKT_PS1_llllllllllll.has_dyn_sized_stack, 0
	.set _ZL10tri_kernelI14__hip_bfloat16Lb0ELi0EEvPKT_PS1_llllllllllll.has_recursion, 0
	.set _ZL10tri_kernelI14__hip_bfloat16Lb0ELi0EEvPKT_PS1_llllllllllll.has_indirect_call, 0
	.section	.AMDGPU.csdata,"",@progbits
; Kernel info:
; codeLenInByte = 828
; TotalNumSgprs: 34
; NumVgprs: 12
; ScratchSize: 0
; MemoryBound: 0
; FloatMode: 240
; IeeeMode: 1
; LDSByteSize: 0 bytes/workgroup (compile time only)
; SGPRBlocks: 0
; VGPRBlocks: 0
; NumSGPRsForWavesPerEU: 34
; NumVGPRsForWavesPerEU: 12
; NamedBarCnt: 0
; Occupancy: 16
; WaveLimiterHint : 0
; COMPUTE_PGM_RSRC2:SCRATCH_EN: 0
; COMPUTE_PGM_RSRC2:USER_SGPR: 2
; COMPUTE_PGM_RSRC2:TRAP_HANDLER: 0
; COMPUTE_PGM_RSRC2:TGID_X_EN: 1
; COMPUTE_PGM_RSRC2:TGID_Y_EN: 1
; COMPUTE_PGM_RSRC2:TGID_Z_EN: 1
; COMPUTE_PGM_RSRC2:TIDIG_COMP_CNT: 0
	.section	.text._ZL10tri_kernelI14__hip_bfloat16Lb0ELi1EEvPKT_PS1_llllllllllll,"axG",@progbits,_ZL10tri_kernelI14__hip_bfloat16Lb0ELi1EEvPKT_PS1_llllllllllll,comdat
	.globl	_ZL10tri_kernelI14__hip_bfloat16Lb0ELi1EEvPKT_PS1_llllllllllll ; -- Begin function _ZL10tri_kernelI14__hip_bfloat16Lb0ELi1EEvPKT_PS1_llllllllllll
	.p2align	8
	.type	_ZL10tri_kernelI14__hip_bfloat16Lb0ELi1EEvPKT_PS1_llllllllllll,@function
_ZL10tri_kernelI14__hip_bfloat16Lb0ELi1EEvPKT_PS1_llllllllllll: ; @_ZL10tri_kernelI14__hip_bfloat16Lb0ELi1EEvPKT_PS1_llllllllllll
; %bb.0:
	s_clause 0x1
	s_load_b128 s[12:15], s[0:1], 0x20
	s_load_b256 s[4:11], s[0:1], 0x0
	s_bfe_u32 s2, ttmp6, 0x4000c
	s_bfe_u32 s16, ttmp6, 0x40010
	s_add_co_i32 s2, s2, 1
	s_and_b32 s3, ttmp6, 15
	s_mul_i32 s2, ttmp9, s2
	s_and_b32 s18, ttmp7, 0xffff
	s_add_co_i32 s16, s16, 1
	s_bfe_u32 s17, ttmp6, 0x40014
	s_add_co_i32 s3, s3, s2
	s_mul_i32 s2, s18, s16
	s_bfe_u32 s16, ttmp6, 0x40004
	s_lshr_b32 s19, ttmp7, 16
	s_add_co_i32 s17, s17, 1
	s_add_co_i32 s2, s16, s2
	s_mul_i32 s16, s19, s17
	s_bfe_u32 s17, ttmp6, 0x40008
	s_getreg_b32 s20, hwreg(HW_REG_IB_STS2, 6, 4)
	s_add_co_i32 s16, s17, s16
	s_cmp_eq_u32 s20, 0
	s_mov_b32 s17, 0
	s_cselect_b32 s16, s19, s16
	s_cselect_b32 s18, s18, s2
	s_mov_b32 s19, s17
	s_cselect_b32 s2, ttmp9, s3
	s_mov_b32 s3, s17
	s_wait_kmcnt 0x0
	v_cmp_le_i64_e64 s14, s[14:15], s[16:17]
	v_cmp_le_i64_e64 s12, s[12:13], s[18:19]
	;; [unrolled: 1-line block ×3, first 2 shown]
	s_or_b32 s11, s12, s14
	s_delay_alu instid0(SALU_CYCLE_1) | instskip(NEXT) | instid1(SALU_CYCLE_1)
	s_or_b32 s10, s10, s11
	s_and_b32 vcc_lo, exec_lo, s10
	s_cbranch_vccnz .LBB11_12
; %bb.1:
	s_clause 0x1
	s_load_b128 s[12:15], s[0:1], 0x58
	s_load_b64 s[22:23], s[0:1], 0x68
	v_mov_b32_e32 v1, 0
	s_add_nc_u64 s[20:21], s[2:3], 1
	s_mov_b32 s26, exec_lo
	s_wait_kmcnt 0x0
	s_mul_u64 s[10:11], s[14:15], s[18:19]
	s_mul_u64 s[14:15], s[22:23], s[16:17]
	v_cmpx_ge_u32_e64 s2, v0
	s_cbranch_execz .LBB11_9
; %bb.2:
	s_load_b32 s22, s[0:1], 0x7c
	v_sub_nc_u64_e32 v[2:3], s[20:21], v[0:1]
	v_mov_b64_e32 v[4:5], v[0:1]
	s_mul_u64 s[24:25], s[12:13], s[2:3]
	s_mov_b32 s27, -1
	s_delay_alu instid0(VALU_DEP_2) | instskip(SKIP_2) | instid1(SALU_CYCLE_1)
	v_cmp_lt_u64_e32 vcc_lo, 3, v[2:3]
	s_wait_kmcnt 0x0
	s_and_b32 s22, s22, 0xffff
	s_cmp_eq_u32 s22, 1
	s_cselect_b32 s23, -1, 0
	s_delay_alu instid0(SALU_CYCLE_1) | instskip(NEXT) | instid1(SALU_CYCLE_1)
	s_and_b32 s28, vcc_lo, s23
	s_and_saveexec_b32 s23, s28
	s_cbranch_execz .LBB11_6
; %bb.3:
	s_lshl_b64 s[28:29], s[24:25], 1
	s_lshl_b64 s[30:31], s[10:11], 1
	s_add_nc_u64 s[28:29], s[6:7], s[28:29]
	v_dual_mov_b32 v7, 0 :: v_dual_lshlrev_b32 v6, 1, v0
	v_dual_mov_b32 v5, v3 :: v_dual_bitop2_b32 v4, -4, v2 bitop3:0x40
	s_lshl_b64 s[34:35], s[14:15], 1
	s_add_nc_u64 s[28:29], s[28:29], s[30:31]
	s_mov_b32 s27, 0
	s_add_nc_u64 s[28:29], s[28:29], s[34:35]
	v_mov_b64_e32 v[10:11], v[4:5]
	v_add_nc_u64_e32 v[8:9], s[28:29], v[6:7]
	v_mov_b32_e32 v6, v7
.LBB11_4:                               ; =>This Inner Loop Header: Depth=1
	s_delay_alu instid0(VALU_DEP_3)
	v_add_nc_u64_e32 v[10:11], -4, v[10:11]
	global_store_b64 v[8:9], v[6:7], off
	s_wait_xcnt 0x0
	v_add_nc_u64_e32 v[8:9], 8, v[8:9]
	v_cmp_eq_u64_e32 vcc_lo, 0, v[10:11]
	s_or_b32 s27, vcc_lo, s27
	s_delay_alu instid0(SALU_CYCLE_1)
	s_and_not1_b32 exec_lo, exec_lo, s27
	s_cbranch_execnz .LBB11_4
; %bb.5:
	s_or_b32 exec_lo, exec_lo, s27
	v_cmp_ne_u64_e32 vcc_lo, v[2:3], v[4:5]
	v_add_nc_u64_e32 v[4:5], v[4:5], v[0:1]
	s_or_not1_b32 s27, vcc_lo, exec_lo
.LBB11_6:
	s_or_b32 exec_lo, exec_lo, s23
	s_delay_alu instid0(SALU_CYCLE_1)
	s_and_b32 exec_lo, exec_lo, s27
	s_cbranch_execz .LBB11_9
; %bb.7:
	s_lshl_b64 s[28:29], s[14:15], 1
	s_lshl_b64 s[30:31], s[10:11], 1
	;; [unrolled: 1-line block ×3, first 2 shown]
	s_add_nc_u64 s[28:29], s[28:29], s[30:31]
	v_mov_b32_e32 v6, 0
	s_add_nc_u64 s[24:25], s[28:29], s[24:25]
	s_mov_b32 s23, 0
	s_add_nc_u64 s[24:25], s[6:7], s[24:25]
	s_mov_b32 s27, s23
	v_lshl_add_u64 v[2:3], v[4:5], 1, s[24:25]
	s_lshl_b32 s24, s22, 1
	s_mov_b32 s25, s23
.LBB11_8:                               ; =>This Inner Loop Header: Depth=1
	v_add_nc_u64_e32 v[4:5], s[22:23], v[4:5]
	global_store_b16 v[2:3], v6, off
	s_wait_xcnt 0x0
	v_add_nc_u64_e32 v[2:3], s[24:25], v[2:3]
	v_cmp_lt_u64_e32 vcc_lo, s[2:3], v[4:5]
	s_or_b32 s27, vcc_lo, s27
	s_delay_alu instid0(SALU_CYCLE_1)
	s_and_not1_b32 exec_lo, exec_lo, s27
	s_cbranch_execnz .LBB11_8
.LBB11_9:
	s_or_b32 exec_lo, exec_lo, s26
	v_add_nc_u64_e32 v[2:3], s[20:21], v[0:1]
	s_mov_b32 s20, exec_lo
	s_delay_alu instid0(VALU_DEP_1)
	v_cmpx_gt_i64_e64 s[8:9], v[2:3]
	s_cbranch_execz .LBB11_12
; %bb.10:
	s_clause 0x2
	s_load_b128 s[20:23], s[0:1], 0x38
	s_load_b64 s[24:25], s[0:1], 0x48
	s_load_b32 s26, s[0:1], 0x7c
	s_wait_xcnt 0x0
	s_add_nc_u64 s[0:1], s[12:13], 1
	s_add_nc_u64 s[10:11], s[14:15], s[10:11]
	s_mul_u64 s[0:1], s[0:1], s[2:3]
	s_delay_alu instid0(SALU_CYCLE_1) | instskip(NEXT) | instid1(SALU_CYCLE_1)
	s_add_nc_u64 s[0:1], s[10:11], s[0:1]
	v_add_nc_u64_e32 v[4:5], s[0:1], v[0:1]
	s_wait_kmcnt 0x0
	s_mul_u64 s[10:11], s[22:23], s[18:19]
	s_mul_u64 s[12:13], s[24:25], s[16:17]
	s_add_nc_u64 s[14:15], s[20:21], 1
	s_add_nc_u64 s[10:11], s[12:13], s[10:11]
	s_mul_u64 s[2:3], s[14:15], s[2:3]
	s_delay_alu instid0(SALU_CYCLE_1) | instskip(NEXT) | instid1(SALU_CYCLE_1)
	s_add_nc_u64 s[0:1], s[10:11], s[2:3]
	v_add_nc_u64_e32 v[6:7], s[0:1], v[0:1]
	v_lshl_add_u64 v[0:1], v[4:5], 1, s[6:7]
	s_and_b32 s0, s26, 0xffff
	s_mov_b32 s1, 0
	s_lshl_b32 s2, s0, 1
	s_mov_b32 s3, s1
	s_mov_b32 s6, s1
	v_lshl_add_u64 v[4:5], v[6:7], 1, s[4:5]
	s_mov_b64 s[4:5], 2
.LBB11_11:                              ; =>This Inner Loop Header: Depth=1
	s_delay_alu instid0(VALU_DEP_1) | instid1(SALU_CYCLE_1)
	v_add_nc_u64_e32 v[6:7], s[4:5], v[4:5]
	v_add_nc_u64_e32 v[2:3], s[0:1], v[2:3]
	global_load_u16 v8, v[6:7], off
	v_cmp_le_i64_e32 vcc_lo, s[8:9], v[2:3]
	s_wait_xcnt 0x0
	v_add_nc_u64_e32 v[6:7], s[4:5], v[0:1]
	s_add_nc_u64 s[4:5], s[4:5], s[2:3]
	s_or_b32 s6, vcc_lo, s6
	s_wait_loadcnt 0x0
	global_store_b16 v[6:7], v8, off
	s_wait_xcnt 0x0
	s_and_not1_b32 exec_lo, exec_lo, s6
	s_cbranch_execnz .LBB11_11
.LBB11_12:
	s_endpgm
	.section	.rodata,"a",@progbits
	.p2align	6, 0x0
	.amdhsa_kernel _ZL10tri_kernelI14__hip_bfloat16Lb0ELi1EEvPKT_PS1_llllllllllll
		.amdhsa_group_segment_fixed_size 0
		.amdhsa_private_segment_fixed_size 0
		.amdhsa_kernarg_size 368
		.amdhsa_user_sgpr_count 2
		.amdhsa_user_sgpr_dispatch_ptr 0
		.amdhsa_user_sgpr_queue_ptr 0
		.amdhsa_user_sgpr_kernarg_segment_ptr 1
		.amdhsa_user_sgpr_dispatch_id 0
		.amdhsa_user_sgpr_kernarg_preload_length 0
		.amdhsa_user_sgpr_kernarg_preload_offset 0
		.amdhsa_user_sgpr_private_segment_size 0
		.amdhsa_wavefront_size32 1
		.amdhsa_uses_dynamic_stack 0
		.amdhsa_enable_private_segment 0
		.amdhsa_system_sgpr_workgroup_id_x 1
		.amdhsa_system_sgpr_workgroup_id_y 1
		.amdhsa_system_sgpr_workgroup_id_z 1
		.amdhsa_system_sgpr_workgroup_info 0
		.amdhsa_system_vgpr_workitem_id 0
		.amdhsa_next_free_vgpr 12
		.amdhsa_next_free_sgpr 36
		.amdhsa_named_barrier_count 0
		.amdhsa_reserve_vcc 1
		.amdhsa_float_round_mode_32 0
		.amdhsa_float_round_mode_16_64 0
		.amdhsa_float_denorm_mode_32 3
		.amdhsa_float_denorm_mode_16_64 3
		.amdhsa_fp16_overflow 0
		.amdhsa_memory_ordered 1
		.amdhsa_forward_progress 1
		.amdhsa_inst_pref_size 7
		.amdhsa_round_robin_scheduling 0
		.amdhsa_exception_fp_ieee_invalid_op 0
		.amdhsa_exception_fp_denorm_src 0
		.amdhsa_exception_fp_ieee_div_zero 0
		.amdhsa_exception_fp_ieee_overflow 0
		.amdhsa_exception_fp_ieee_underflow 0
		.amdhsa_exception_fp_ieee_inexact 0
		.amdhsa_exception_int_div_zero 0
	.end_amdhsa_kernel
	.section	.text._ZL10tri_kernelI14__hip_bfloat16Lb0ELi1EEvPKT_PS1_llllllllllll,"axG",@progbits,_ZL10tri_kernelI14__hip_bfloat16Lb0ELi1EEvPKT_PS1_llllllllllll,comdat
.Lfunc_end11:
	.size	_ZL10tri_kernelI14__hip_bfloat16Lb0ELi1EEvPKT_PS1_llllllllllll, .Lfunc_end11-_ZL10tri_kernelI14__hip_bfloat16Lb0ELi1EEvPKT_PS1_llllllllllll
                                        ; -- End function
	.set _ZL10tri_kernelI14__hip_bfloat16Lb0ELi1EEvPKT_PS1_llllllllllll.num_vgpr, 12
	.set _ZL10tri_kernelI14__hip_bfloat16Lb0ELi1EEvPKT_PS1_llllllllllll.num_agpr, 0
	.set _ZL10tri_kernelI14__hip_bfloat16Lb0ELi1EEvPKT_PS1_llllllllllll.numbered_sgpr, 36
	.set _ZL10tri_kernelI14__hip_bfloat16Lb0ELi1EEvPKT_PS1_llllllllllll.num_named_barrier, 0
	.set _ZL10tri_kernelI14__hip_bfloat16Lb0ELi1EEvPKT_PS1_llllllllllll.private_seg_size, 0
	.set _ZL10tri_kernelI14__hip_bfloat16Lb0ELi1EEvPKT_PS1_llllllllllll.uses_vcc, 1
	.set _ZL10tri_kernelI14__hip_bfloat16Lb0ELi1EEvPKT_PS1_llllllllllll.uses_flat_scratch, 0
	.set _ZL10tri_kernelI14__hip_bfloat16Lb0ELi1EEvPKT_PS1_llllllllllll.has_dyn_sized_stack, 0
	.set _ZL10tri_kernelI14__hip_bfloat16Lb0ELi1EEvPKT_PS1_llllllllllll.has_recursion, 0
	.set _ZL10tri_kernelI14__hip_bfloat16Lb0ELi1EEvPKT_PS1_llllllllllll.has_indirect_call, 0
	.section	.AMDGPU.csdata,"",@progbits
; Kernel info:
; codeLenInByte = 792
; TotalNumSgprs: 38
; NumVgprs: 12
; ScratchSize: 0
; MemoryBound: 0
; FloatMode: 240
; IeeeMode: 1
; LDSByteSize: 0 bytes/workgroup (compile time only)
; SGPRBlocks: 0
; VGPRBlocks: 0
; NumSGPRsForWavesPerEU: 38
; NumVGPRsForWavesPerEU: 12
; NamedBarCnt: 0
; Occupancy: 16
; WaveLimiterHint : 0
; COMPUTE_PGM_RSRC2:SCRATCH_EN: 0
; COMPUTE_PGM_RSRC2:USER_SGPR: 2
; COMPUTE_PGM_RSRC2:TRAP_HANDLER: 0
; COMPUTE_PGM_RSRC2:TGID_X_EN: 1
; COMPUTE_PGM_RSRC2:TGID_Y_EN: 1
; COMPUTE_PGM_RSRC2:TGID_Z_EN: 1
; COMPUTE_PGM_RSRC2:TIDIG_COMP_CNT: 0
	.section	.AMDGPU.gpr_maximums,"",@progbits
	.set amdgpu.max_num_vgpr, 0
	.set amdgpu.max_num_agpr, 0
	.set amdgpu.max_num_sgpr, 0
	.section	.AMDGPU.csdata,"",@progbits
	.type	__hip_cuid_690e44d0bcffc881,@object ; @__hip_cuid_690e44d0bcffc881
	.section	.bss,"aw",@nobits
	.globl	__hip_cuid_690e44d0bcffc881
__hip_cuid_690e44d0bcffc881:
	.byte	0                               ; 0x0
	.size	__hip_cuid_690e44d0bcffc881, 1

	.ident	"AMD clang version 22.0.0git (https://github.com/RadeonOpenCompute/llvm-project roc-7.2.4 26084 f58b06dce1f9c15707c5f808fd002e18c2accf7e)"
	.section	".note.GNU-stack","",@progbits
	.addrsig
	.addrsig_sym __hip_cuid_690e44d0bcffc881
	.amdgpu_metadata
---
amdhsa.kernels:
  - .args:
      - .address_space:  global
        .offset:         0
        .size:           8
        .value_kind:     global_buffer
      - .address_space:  global
        .offset:         8
        .size:           8
        .value_kind:     global_buffer
      - .offset:         16
        .size:           8
        .value_kind:     by_value
      - .offset:         24
        .size:           8
        .value_kind:     by_value
      - .offset:         32
        .size:           8
        .value_kind:     by_value
      - .offset:         40
        .size:           8
        .value_kind:     by_value
      - .offset:         48
        .size:           8
        .value_kind:     by_value
      - .offset:         56
        .size:           8
        .value_kind:     by_value
      - .offset:         64
        .size:           8
        .value_kind:     by_value
      - .offset:         72
        .size:           8
        .value_kind:     by_value
      - .offset:         80
        .size:           8
        .value_kind:     by_value
      - .offset:         88
        .size:           8
        .value_kind:     by_value
      - .offset:         96
        .size:           8
        .value_kind:     by_value
      - .offset:         104
        .size:           8
        .value_kind:     by_value
      - .offset:         112
        .size:           4
        .value_kind:     hidden_block_count_x
      - .offset:         116
        .size:           4
        .value_kind:     hidden_block_count_y
      - .offset:         120
        .size:           4
        .value_kind:     hidden_block_count_z
      - .offset:         124
        .size:           2
        .value_kind:     hidden_group_size_x
      - .offset:         126
        .size:           2
        .value_kind:     hidden_group_size_y
      - .offset:         128
        .size:           2
        .value_kind:     hidden_group_size_z
      - .offset:         130
        .size:           2
        .value_kind:     hidden_remainder_x
      - .offset:         132
        .size:           2
        .value_kind:     hidden_remainder_y
      - .offset:         134
        .size:           2
        .value_kind:     hidden_remainder_z
      - .offset:         152
        .size:           8
        .value_kind:     hidden_global_offset_x
      - .offset:         160
        .size:           8
        .value_kind:     hidden_global_offset_y
      - .offset:         168
        .size:           8
        .value_kind:     hidden_global_offset_z
      - .offset:         176
        .size:           2
        .value_kind:     hidden_grid_dims
    .group_segment_fixed_size: 0
    .kernarg_segment_align: 8
    .kernarg_segment_size: 368
    .language:       OpenCL C
    .language_version:
      - 2
      - 0
    .max_flat_workgroup_size: 1024
    .name:           _ZL10tri_kernelIfLb1ELi0EEvPKT_PS0_llllllllllll
    .private_segment_fixed_size: 0
    .sgpr_count:     40
    .sgpr_spill_count: 0
    .symbol:         _ZL10tri_kernelIfLb1ELi0EEvPKT_PS0_llllllllllll.kd
    .uniform_work_group_size: 1
    .uses_dynamic_stack: false
    .vgpr_count:     12
    .vgpr_spill_count: 0
    .wavefront_size: 32
  - .args:
      - .address_space:  global
        .offset:         0
        .size:           8
        .value_kind:     global_buffer
      - .address_space:  global
        .offset:         8
        .size:           8
        .value_kind:     global_buffer
      - .offset:         16
        .size:           8
        .value_kind:     by_value
      - .offset:         24
        .size:           8
        .value_kind:     by_value
      - .offset:         32
        .size:           8
        .value_kind:     by_value
      - .offset:         40
        .size:           8
        .value_kind:     by_value
      - .offset:         48
        .size:           8
        .value_kind:     by_value
      - .offset:         56
        .size:           8
        .value_kind:     by_value
      - .offset:         64
        .size:           8
        .value_kind:     by_value
      - .offset:         72
        .size:           8
        .value_kind:     by_value
      - .offset:         80
        .size:           8
        .value_kind:     by_value
      - .offset:         88
        .size:           8
        .value_kind:     by_value
      - .offset:         96
        .size:           8
        .value_kind:     by_value
      - .offset:         104
        .size:           8
        .value_kind:     by_value
      - .offset:         112
        .size:           4
        .value_kind:     hidden_block_count_x
      - .offset:         116
        .size:           4
        .value_kind:     hidden_block_count_y
      - .offset:         120
        .size:           4
        .value_kind:     hidden_block_count_z
      - .offset:         124
        .size:           2
        .value_kind:     hidden_group_size_x
      - .offset:         126
        .size:           2
        .value_kind:     hidden_group_size_y
      - .offset:         128
        .size:           2
        .value_kind:     hidden_group_size_z
      - .offset:         130
        .size:           2
        .value_kind:     hidden_remainder_x
      - .offset:         132
        .size:           2
        .value_kind:     hidden_remainder_y
      - .offset:         134
        .size:           2
        .value_kind:     hidden_remainder_z
      - .offset:         152
        .size:           8
        .value_kind:     hidden_global_offset_x
      - .offset:         160
        .size:           8
        .value_kind:     hidden_global_offset_y
      - .offset:         168
        .size:           8
        .value_kind:     hidden_global_offset_z
      - .offset:         176
        .size:           2
        .value_kind:     hidden_grid_dims
    .group_segment_fixed_size: 0
    .kernarg_segment_align: 8
    .kernarg_segment_size: 368
    .language:       OpenCL C
    .language_version:
      - 2
      - 0
    .max_flat_workgroup_size: 1024
    .name:           _ZL10tri_kernelIfLb1ELi1EEvPKT_PS0_llllllllllll
    .private_segment_fixed_size: 0
    .sgpr_count:     40
    .sgpr_spill_count: 0
    .symbol:         _ZL10tri_kernelIfLb1ELi1EEvPKT_PS0_llllllllllll.kd
    .uniform_work_group_size: 1
    .uses_dynamic_stack: false
    .vgpr_count:     12
    .vgpr_spill_count: 0
    .wavefront_size: 32
  - .args:
      - .address_space:  global
        .offset:         0
        .size:           8
        .value_kind:     global_buffer
      - .address_space:  global
        .offset:         8
        .size:           8
        .value_kind:     global_buffer
      - .offset:         16
        .size:           8
        .value_kind:     by_value
      - .offset:         24
        .size:           8
        .value_kind:     by_value
      - .offset:         32
        .size:           8
        .value_kind:     by_value
      - .offset:         40
        .size:           8
        .value_kind:     by_value
      - .offset:         48
        .size:           8
        .value_kind:     by_value
      - .offset:         56
        .size:           8
        .value_kind:     by_value
      - .offset:         64
        .size:           8
        .value_kind:     by_value
      - .offset:         72
        .size:           8
        .value_kind:     by_value
      - .offset:         80
        .size:           8
        .value_kind:     by_value
      - .offset:         88
        .size:           8
        .value_kind:     by_value
      - .offset:         96
        .size:           8
        .value_kind:     by_value
      - .offset:         104
        .size:           8
        .value_kind:     by_value
      - .offset:         112
        .size:           4
        .value_kind:     hidden_block_count_x
      - .offset:         116
        .size:           4
        .value_kind:     hidden_block_count_y
      - .offset:         120
        .size:           4
        .value_kind:     hidden_block_count_z
      - .offset:         124
        .size:           2
        .value_kind:     hidden_group_size_x
      - .offset:         126
        .size:           2
        .value_kind:     hidden_group_size_y
      - .offset:         128
        .size:           2
        .value_kind:     hidden_group_size_z
      - .offset:         130
        .size:           2
        .value_kind:     hidden_remainder_x
      - .offset:         132
        .size:           2
        .value_kind:     hidden_remainder_y
      - .offset:         134
        .size:           2
        .value_kind:     hidden_remainder_z
      - .offset:         152
        .size:           8
        .value_kind:     hidden_global_offset_x
      - .offset:         160
        .size:           8
        .value_kind:     hidden_global_offset_y
      - .offset:         168
        .size:           8
        .value_kind:     hidden_global_offset_z
      - .offset:         176
        .size:           2
        .value_kind:     hidden_grid_dims
    .group_segment_fixed_size: 0
    .kernarg_segment_align: 8
    .kernarg_segment_size: 368
    .language:       OpenCL C
    .language_version:
      - 2
      - 0
    .max_flat_workgroup_size: 1024
    .name:           _ZL10tri_kernelIfLb0ELi0EEvPKT_PS0_llllllllllll
    .private_segment_fixed_size: 0
    .sgpr_count:     34
    .sgpr_spill_count: 0
    .symbol:         _ZL10tri_kernelIfLb0ELi0EEvPKT_PS0_llllllllllll.kd
    .uniform_work_group_size: 1
    .uses_dynamic_stack: false
    .vgpr_count:     12
    .vgpr_spill_count: 0
    .wavefront_size: 32
  - .args:
      - .address_space:  global
        .offset:         0
        .size:           8
        .value_kind:     global_buffer
      - .address_space:  global
        .offset:         8
        .size:           8
        .value_kind:     global_buffer
      - .offset:         16
        .size:           8
        .value_kind:     by_value
      - .offset:         24
        .size:           8
        .value_kind:     by_value
      - .offset:         32
        .size:           8
        .value_kind:     by_value
      - .offset:         40
        .size:           8
        .value_kind:     by_value
      - .offset:         48
        .size:           8
        .value_kind:     by_value
      - .offset:         56
        .size:           8
        .value_kind:     by_value
      - .offset:         64
        .size:           8
        .value_kind:     by_value
      - .offset:         72
        .size:           8
        .value_kind:     by_value
      - .offset:         80
        .size:           8
        .value_kind:     by_value
      - .offset:         88
        .size:           8
        .value_kind:     by_value
      - .offset:         96
        .size:           8
        .value_kind:     by_value
      - .offset:         104
        .size:           8
        .value_kind:     by_value
      - .offset:         112
        .size:           4
        .value_kind:     hidden_block_count_x
      - .offset:         116
        .size:           4
        .value_kind:     hidden_block_count_y
      - .offset:         120
        .size:           4
        .value_kind:     hidden_block_count_z
      - .offset:         124
        .size:           2
        .value_kind:     hidden_group_size_x
      - .offset:         126
        .size:           2
        .value_kind:     hidden_group_size_y
      - .offset:         128
        .size:           2
        .value_kind:     hidden_group_size_z
      - .offset:         130
        .size:           2
        .value_kind:     hidden_remainder_x
      - .offset:         132
        .size:           2
        .value_kind:     hidden_remainder_y
      - .offset:         134
        .size:           2
        .value_kind:     hidden_remainder_z
      - .offset:         152
        .size:           8
        .value_kind:     hidden_global_offset_x
      - .offset:         160
        .size:           8
        .value_kind:     hidden_global_offset_y
      - .offset:         168
        .size:           8
        .value_kind:     hidden_global_offset_z
      - .offset:         176
        .size:           2
        .value_kind:     hidden_grid_dims
    .group_segment_fixed_size: 0
    .kernarg_segment_align: 8
    .kernarg_segment_size: 368
    .language:       OpenCL C
    .language_version:
      - 2
      - 0
    .max_flat_workgroup_size: 1024
    .name:           _ZL10tri_kernelIfLb0ELi1EEvPKT_PS0_llllllllllll
    .private_segment_fixed_size: 0
    .sgpr_count:     38
    .sgpr_spill_count: 0
    .symbol:         _ZL10tri_kernelIfLb0ELi1EEvPKT_PS0_llllllllllll.kd
    .uniform_work_group_size: 1
    .uses_dynamic_stack: false
    .vgpr_count:     12
    .vgpr_spill_count: 0
    .wavefront_size: 32
  - .args:
      - .address_space:  global
        .offset:         0
        .size:           8
        .value_kind:     global_buffer
      - .address_space:  global
        .offset:         8
        .size:           8
        .value_kind:     global_buffer
      - .offset:         16
        .size:           8
        .value_kind:     by_value
      - .offset:         24
        .size:           8
        .value_kind:     by_value
      - .offset:         32
        .size:           8
        .value_kind:     by_value
      - .offset:         40
        .size:           8
        .value_kind:     by_value
      - .offset:         48
        .size:           8
        .value_kind:     by_value
      - .offset:         56
        .size:           8
        .value_kind:     by_value
      - .offset:         64
        .size:           8
        .value_kind:     by_value
      - .offset:         72
        .size:           8
        .value_kind:     by_value
      - .offset:         80
        .size:           8
        .value_kind:     by_value
      - .offset:         88
        .size:           8
        .value_kind:     by_value
      - .offset:         96
        .size:           8
        .value_kind:     by_value
      - .offset:         104
        .size:           8
        .value_kind:     by_value
      - .offset:         112
        .size:           4
        .value_kind:     hidden_block_count_x
      - .offset:         116
        .size:           4
        .value_kind:     hidden_block_count_y
      - .offset:         120
        .size:           4
        .value_kind:     hidden_block_count_z
      - .offset:         124
        .size:           2
        .value_kind:     hidden_group_size_x
      - .offset:         126
        .size:           2
        .value_kind:     hidden_group_size_y
      - .offset:         128
        .size:           2
        .value_kind:     hidden_group_size_z
      - .offset:         130
        .size:           2
        .value_kind:     hidden_remainder_x
      - .offset:         132
        .size:           2
        .value_kind:     hidden_remainder_y
      - .offset:         134
        .size:           2
        .value_kind:     hidden_remainder_z
      - .offset:         152
        .size:           8
        .value_kind:     hidden_global_offset_x
      - .offset:         160
        .size:           8
        .value_kind:     hidden_global_offset_y
      - .offset:         168
        .size:           8
        .value_kind:     hidden_global_offset_z
      - .offset:         176
        .size:           2
        .value_kind:     hidden_grid_dims
    .group_segment_fixed_size: 0
    .kernarg_segment_align: 8
    .kernarg_segment_size: 368
    .language:       OpenCL C
    .language_version:
      - 2
      - 0
    .max_flat_workgroup_size: 1024
    .name:           _ZL10tri_kernelI6__halfLb1ELi0EEvPKT_PS1_llllllllllll
    .private_segment_fixed_size: 0
    .sgpr_count:     40
    .sgpr_spill_count: 0
    .symbol:         _ZL10tri_kernelI6__halfLb1ELi0EEvPKT_PS1_llllllllllll.kd
    .uniform_work_group_size: 1
    .uses_dynamic_stack: false
    .vgpr_count:     12
    .vgpr_spill_count: 0
    .wavefront_size: 32
  - .args:
      - .address_space:  global
        .offset:         0
        .size:           8
        .value_kind:     global_buffer
      - .address_space:  global
        .offset:         8
        .size:           8
        .value_kind:     global_buffer
      - .offset:         16
        .size:           8
        .value_kind:     by_value
      - .offset:         24
        .size:           8
        .value_kind:     by_value
      - .offset:         32
        .size:           8
        .value_kind:     by_value
      - .offset:         40
        .size:           8
        .value_kind:     by_value
      - .offset:         48
        .size:           8
        .value_kind:     by_value
      - .offset:         56
        .size:           8
        .value_kind:     by_value
      - .offset:         64
        .size:           8
        .value_kind:     by_value
      - .offset:         72
        .size:           8
        .value_kind:     by_value
      - .offset:         80
        .size:           8
        .value_kind:     by_value
      - .offset:         88
        .size:           8
        .value_kind:     by_value
      - .offset:         96
        .size:           8
        .value_kind:     by_value
      - .offset:         104
        .size:           8
        .value_kind:     by_value
      - .offset:         112
        .size:           4
        .value_kind:     hidden_block_count_x
      - .offset:         116
        .size:           4
        .value_kind:     hidden_block_count_y
      - .offset:         120
        .size:           4
        .value_kind:     hidden_block_count_z
      - .offset:         124
        .size:           2
        .value_kind:     hidden_group_size_x
      - .offset:         126
        .size:           2
        .value_kind:     hidden_group_size_y
      - .offset:         128
        .size:           2
        .value_kind:     hidden_group_size_z
      - .offset:         130
        .size:           2
        .value_kind:     hidden_remainder_x
      - .offset:         132
        .size:           2
        .value_kind:     hidden_remainder_y
      - .offset:         134
        .size:           2
        .value_kind:     hidden_remainder_z
      - .offset:         152
        .size:           8
        .value_kind:     hidden_global_offset_x
      - .offset:         160
        .size:           8
        .value_kind:     hidden_global_offset_y
      - .offset:         168
        .size:           8
        .value_kind:     hidden_global_offset_z
      - .offset:         176
        .size:           2
        .value_kind:     hidden_grid_dims
    .group_segment_fixed_size: 0
    .kernarg_segment_align: 8
    .kernarg_segment_size: 368
    .language:       OpenCL C
    .language_version:
      - 2
      - 0
    .max_flat_workgroup_size: 1024
    .name:           _ZL10tri_kernelI6__halfLb1ELi1EEvPKT_PS1_llllllllllll
    .private_segment_fixed_size: 0
    .sgpr_count:     40
    .sgpr_spill_count: 0
    .symbol:         _ZL10tri_kernelI6__halfLb1ELi1EEvPKT_PS1_llllllllllll.kd
    .uniform_work_group_size: 1
    .uses_dynamic_stack: false
    .vgpr_count:     12
    .vgpr_spill_count: 0
    .wavefront_size: 32
  - .args:
      - .address_space:  global
        .offset:         0
        .size:           8
        .value_kind:     global_buffer
      - .address_space:  global
        .offset:         8
        .size:           8
        .value_kind:     global_buffer
      - .offset:         16
        .size:           8
        .value_kind:     by_value
      - .offset:         24
        .size:           8
        .value_kind:     by_value
      - .offset:         32
        .size:           8
        .value_kind:     by_value
      - .offset:         40
        .size:           8
        .value_kind:     by_value
      - .offset:         48
        .size:           8
        .value_kind:     by_value
      - .offset:         56
        .size:           8
        .value_kind:     by_value
      - .offset:         64
        .size:           8
        .value_kind:     by_value
      - .offset:         72
        .size:           8
        .value_kind:     by_value
      - .offset:         80
        .size:           8
        .value_kind:     by_value
      - .offset:         88
        .size:           8
        .value_kind:     by_value
      - .offset:         96
        .size:           8
        .value_kind:     by_value
      - .offset:         104
        .size:           8
        .value_kind:     by_value
      - .offset:         112
        .size:           4
        .value_kind:     hidden_block_count_x
      - .offset:         116
        .size:           4
        .value_kind:     hidden_block_count_y
      - .offset:         120
        .size:           4
        .value_kind:     hidden_block_count_z
      - .offset:         124
        .size:           2
        .value_kind:     hidden_group_size_x
      - .offset:         126
        .size:           2
        .value_kind:     hidden_group_size_y
      - .offset:         128
        .size:           2
        .value_kind:     hidden_group_size_z
      - .offset:         130
        .size:           2
        .value_kind:     hidden_remainder_x
      - .offset:         132
        .size:           2
        .value_kind:     hidden_remainder_y
      - .offset:         134
        .size:           2
        .value_kind:     hidden_remainder_z
      - .offset:         152
        .size:           8
        .value_kind:     hidden_global_offset_x
      - .offset:         160
        .size:           8
        .value_kind:     hidden_global_offset_y
      - .offset:         168
        .size:           8
        .value_kind:     hidden_global_offset_z
      - .offset:         176
        .size:           2
        .value_kind:     hidden_grid_dims
    .group_segment_fixed_size: 0
    .kernarg_segment_align: 8
    .kernarg_segment_size: 368
    .language:       OpenCL C
    .language_version:
      - 2
      - 0
    .max_flat_workgroup_size: 1024
    .name:           _ZL10tri_kernelI6__halfLb0ELi0EEvPKT_PS1_llllllllllll
    .private_segment_fixed_size: 0
    .sgpr_count:     34
    .sgpr_spill_count: 0
    .symbol:         _ZL10tri_kernelI6__halfLb0ELi0EEvPKT_PS1_llllllllllll.kd
    .uniform_work_group_size: 1
    .uses_dynamic_stack: false
    .vgpr_count:     12
    .vgpr_spill_count: 0
    .wavefront_size: 32
  - .args:
      - .address_space:  global
        .offset:         0
        .size:           8
        .value_kind:     global_buffer
      - .address_space:  global
        .offset:         8
        .size:           8
        .value_kind:     global_buffer
      - .offset:         16
        .size:           8
        .value_kind:     by_value
      - .offset:         24
        .size:           8
        .value_kind:     by_value
      - .offset:         32
        .size:           8
        .value_kind:     by_value
      - .offset:         40
        .size:           8
        .value_kind:     by_value
      - .offset:         48
        .size:           8
        .value_kind:     by_value
      - .offset:         56
        .size:           8
        .value_kind:     by_value
      - .offset:         64
        .size:           8
        .value_kind:     by_value
      - .offset:         72
        .size:           8
        .value_kind:     by_value
      - .offset:         80
        .size:           8
        .value_kind:     by_value
      - .offset:         88
        .size:           8
        .value_kind:     by_value
      - .offset:         96
        .size:           8
        .value_kind:     by_value
      - .offset:         104
        .size:           8
        .value_kind:     by_value
      - .offset:         112
        .size:           4
        .value_kind:     hidden_block_count_x
      - .offset:         116
        .size:           4
        .value_kind:     hidden_block_count_y
      - .offset:         120
        .size:           4
        .value_kind:     hidden_block_count_z
      - .offset:         124
        .size:           2
        .value_kind:     hidden_group_size_x
      - .offset:         126
        .size:           2
        .value_kind:     hidden_group_size_y
      - .offset:         128
        .size:           2
        .value_kind:     hidden_group_size_z
      - .offset:         130
        .size:           2
        .value_kind:     hidden_remainder_x
      - .offset:         132
        .size:           2
        .value_kind:     hidden_remainder_y
      - .offset:         134
        .size:           2
        .value_kind:     hidden_remainder_z
      - .offset:         152
        .size:           8
        .value_kind:     hidden_global_offset_x
      - .offset:         160
        .size:           8
        .value_kind:     hidden_global_offset_y
      - .offset:         168
        .size:           8
        .value_kind:     hidden_global_offset_z
      - .offset:         176
        .size:           2
        .value_kind:     hidden_grid_dims
    .group_segment_fixed_size: 0
    .kernarg_segment_align: 8
    .kernarg_segment_size: 368
    .language:       OpenCL C
    .language_version:
      - 2
      - 0
    .max_flat_workgroup_size: 1024
    .name:           _ZL10tri_kernelI6__halfLb0ELi1EEvPKT_PS1_llllllllllll
    .private_segment_fixed_size: 0
    .sgpr_count:     38
    .sgpr_spill_count: 0
    .symbol:         _ZL10tri_kernelI6__halfLb0ELi1EEvPKT_PS1_llllllllllll.kd
    .uniform_work_group_size: 1
    .uses_dynamic_stack: false
    .vgpr_count:     12
    .vgpr_spill_count: 0
    .wavefront_size: 32
  - .args:
      - .address_space:  global
        .offset:         0
        .size:           8
        .value_kind:     global_buffer
      - .address_space:  global
        .offset:         8
        .size:           8
        .value_kind:     global_buffer
      - .offset:         16
        .size:           8
        .value_kind:     by_value
      - .offset:         24
        .size:           8
        .value_kind:     by_value
      - .offset:         32
        .size:           8
        .value_kind:     by_value
      - .offset:         40
        .size:           8
        .value_kind:     by_value
      - .offset:         48
        .size:           8
        .value_kind:     by_value
      - .offset:         56
        .size:           8
        .value_kind:     by_value
      - .offset:         64
        .size:           8
        .value_kind:     by_value
      - .offset:         72
        .size:           8
        .value_kind:     by_value
      - .offset:         80
        .size:           8
        .value_kind:     by_value
      - .offset:         88
        .size:           8
        .value_kind:     by_value
      - .offset:         96
        .size:           8
        .value_kind:     by_value
      - .offset:         104
        .size:           8
        .value_kind:     by_value
      - .offset:         112
        .size:           4
        .value_kind:     hidden_block_count_x
      - .offset:         116
        .size:           4
        .value_kind:     hidden_block_count_y
      - .offset:         120
        .size:           4
        .value_kind:     hidden_block_count_z
      - .offset:         124
        .size:           2
        .value_kind:     hidden_group_size_x
      - .offset:         126
        .size:           2
        .value_kind:     hidden_group_size_y
      - .offset:         128
        .size:           2
        .value_kind:     hidden_group_size_z
      - .offset:         130
        .size:           2
        .value_kind:     hidden_remainder_x
      - .offset:         132
        .size:           2
        .value_kind:     hidden_remainder_y
      - .offset:         134
        .size:           2
        .value_kind:     hidden_remainder_z
      - .offset:         152
        .size:           8
        .value_kind:     hidden_global_offset_x
      - .offset:         160
        .size:           8
        .value_kind:     hidden_global_offset_y
      - .offset:         168
        .size:           8
        .value_kind:     hidden_global_offset_z
      - .offset:         176
        .size:           2
        .value_kind:     hidden_grid_dims
    .group_segment_fixed_size: 0
    .kernarg_segment_align: 8
    .kernarg_segment_size: 368
    .language:       OpenCL C
    .language_version:
      - 2
      - 0
    .max_flat_workgroup_size: 1024
    .name:           _ZL10tri_kernelI14__hip_bfloat16Lb1ELi0EEvPKT_PS1_llllllllllll
    .private_segment_fixed_size: 0
    .sgpr_count:     40
    .sgpr_spill_count: 0
    .symbol:         _ZL10tri_kernelI14__hip_bfloat16Lb1ELi0EEvPKT_PS1_llllllllllll.kd
    .uniform_work_group_size: 1
    .uses_dynamic_stack: false
    .vgpr_count:     12
    .vgpr_spill_count: 0
    .wavefront_size: 32
  - .args:
      - .address_space:  global
        .offset:         0
        .size:           8
        .value_kind:     global_buffer
      - .address_space:  global
        .offset:         8
        .size:           8
        .value_kind:     global_buffer
      - .offset:         16
        .size:           8
        .value_kind:     by_value
      - .offset:         24
        .size:           8
        .value_kind:     by_value
      - .offset:         32
        .size:           8
        .value_kind:     by_value
      - .offset:         40
        .size:           8
        .value_kind:     by_value
      - .offset:         48
        .size:           8
        .value_kind:     by_value
      - .offset:         56
        .size:           8
        .value_kind:     by_value
      - .offset:         64
        .size:           8
        .value_kind:     by_value
      - .offset:         72
        .size:           8
        .value_kind:     by_value
      - .offset:         80
        .size:           8
        .value_kind:     by_value
      - .offset:         88
        .size:           8
        .value_kind:     by_value
      - .offset:         96
        .size:           8
        .value_kind:     by_value
      - .offset:         104
        .size:           8
        .value_kind:     by_value
      - .offset:         112
        .size:           4
        .value_kind:     hidden_block_count_x
      - .offset:         116
        .size:           4
        .value_kind:     hidden_block_count_y
      - .offset:         120
        .size:           4
        .value_kind:     hidden_block_count_z
      - .offset:         124
        .size:           2
        .value_kind:     hidden_group_size_x
      - .offset:         126
        .size:           2
        .value_kind:     hidden_group_size_y
      - .offset:         128
        .size:           2
        .value_kind:     hidden_group_size_z
      - .offset:         130
        .size:           2
        .value_kind:     hidden_remainder_x
      - .offset:         132
        .size:           2
        .value_kind:     hidden_remainder_y
      - .offset:         134
        .size:           2
        .value_kind:     hidden_remainder_z
      - .offset:         152
        .size:           8
        .value_kind:     hidden_global_offset_x
      - .offset:         160
        .size:           8
        .value_kind:     hidden_global_offset_y
      - .offset:         168
        .size:           8
        .value_kind:     hidden_global_offset_z
      - .offset:         176
        .size:           2
        .value_kind:     hidden_grid_dims
    .group_segment_fixed_size: 0
    .kernarg_segment_align: 8
    .kernarg_segment_size: 368
    .language:       OpenCL C
    .language_version:
      - 2
      - 0
    .max_flat_workgroup_size: 1024
    .name:           _ZL10tri_kernelI14__hip_bfloat16Lb1ELi1EEvPKT_PS1_llllllllllll
    .private_segment_fixed_size: 0
    .sgpr_count:     40
    .sgpr_spill_count: 0
    .symbol:         _ZL10tri_kernelI14__hip_bfloat16Lb1ELi1EEvPKT_PS1_llllllllllll.kd
    .uniform_work_group_size: 1
    .uses_dynamic_stack: false
    .vgpr_count:     12
    .vgpr_spill_count: 0
    .wavefront_size: 32
  - .args:
      - .address_space:  global
        .offset:         0
        .size:           8
        .value_kind:     global_buffer
      - .address_space:  global
        .offset:         8
        .size:           8
        .value_kind:     global_buffer
      - .offset:         16
        .size:           8
        .value_kind:     by_value
      - .offset:         24
        .size:           8
        .value_kind:     by_value
      - .offset:         32
        .size:           8
        .value_kind:     by_value
      - .offset:         40
        .size:           8
        .value_kind:     by_value
      - .offset:         48
        .size:           8
        .value_kind:     by_value
      - .offset:         56
        .size:           8
        .value_kind:     by_value
      - .offset:         64
        .size:           8
        .value_kind:     by_value
      - .offset:         72
        .size:           8
        .value_kind:     by_value
      - .offset:         80
        .size:           8
        .value_kind:     by_value
      - .offset:         88
        .size:           8
        .value_kind:     by_value
      - .offset:         96
        .size:           8
        .value_kind:     by_value
      - .offset:         104
        .size:           8
        .value_kind:     by_value
      - .offset:         112
        .size:           4
        .value_kind:     hidden_block_count_x
      - .offset:         116
        .size:           4
        .value_kind:     hidden_block_count_y
      - .offset:         120
        .size:           4
        .value_kind:     hidden_block_count_z
      - .offset:         124
        .size:           2
        .value_kind:     hidden_group_size_x
      - .offset:         126
        .size:           2
        .value_kind:     hidden_group_size_y
      - .offset:         128
        .size:           2
        .value_kind:     hidden_group_size_z
      - .offset:         130
        .size:           2
        .value_kind:     hidden_remainder_x
      - .offset:         132
        .size:           2
        .value_kind:     hidden_remainder_y
      - .offset:         134
        .size:           2
        .value_kind:     hidden_remainder_z
      - .offset:         152
        .size:           8
        .value_kind:     hidden_global_offset_x
      - .offset:         160
        .size:           8
        .value_kind:     hidden_global_offset_y
      - .offset:         168
        .size:           8
        .value_kind:     hidden_global_offset_z
      - .offset:         176
        .size:           2
        .value_kind:     hidden_grid_dims
    .group_segment_fixed_size: 0
    .kernarg_segment_align: 8
    .kernarg_segment_size: 368
    .language:       OpenCL C
    .language_version:
      - 2
      - 0
    .max_flat_workgroup_size: 1024
    .name:           _ZL10tri_kernelI14__hip_bfloat16Lb0ELi0EEvPKT_PS1_llllllllllll
    .private_segment_fixed_size: 0
    .sgpr_count:     34
    .sgpr_spill_count: 0
    .symbol:         _ZL10tri_kernelI14__hip_bfloat16Lb0ELi0EEvPKT_PS1_llllllllllll.kd
    .uniform_work_group_size: 1
    .uses_dynamic_stack: false
    .vgpr_count:     12
    .vgpr_spill_count: 0
    .wavefront_size: 32
  - .args:
      - .address_space:  global
        .offset:         0
        .size:           8
        .value_kind:     global_buffer
      - .address_space:  global
        .offset:         8
        .size:           8
        .value_kind:     global_buffer
      - .offset:         16
        .size:           8
        .value_kind:     by_value
      - .offset:         24
        .size:           8
        .value_kind:     by_value
      - .offset:         32
        .size:           8
        .value_kind:     by_value
      - .offset:         40
        .size:           8
        .value_kind:     by_value
      - .offset:         48
        .size:           8
        .value_kind:     by_value
      - .offset:         56
        .size:           8
        .value_kind:     by_value
      - .offset:         64
        .size:           8
        .value_kind:     by_value
      - .offset:         72
        .size:           8
        .value_kind:     by_value
      - .offset:         80
        .size:           8
        .value_kind:     by_value
      - .offset:         88
        .size:           8
        .value_kind:     by_value
      - .offset:         96
        .size:           8
        .value_kind:     by_value
      - .offset:         104
        .size:           8
        .value_kind:     by_value
      - .offset:         112
        .size:           4
        .value_kind:     hidden_block_count_x
      - .offset:         116
        .size:           4
        .value_kind:     hidden_block_count_y
      - .offset:         120
        .size:           4
        .value_kind:     hidden_block_count_z
      - .offset:         124
        .size:           2
        .value_kind:     hidden_group_size_x
      - .offset:         126
        .size:           2
        .value_kind:     hidden_group_size_y
      - .offset:         128
        .size:           2
        .value_kind:     hidden_group_size_z
      - .offset:         130
        .size:           2
        .value_kind:     hidden_remainder_x
      - .offset:         132
        .size:           2
        .value_kind:     hidden_remainder_y
      - .offset:         134
        .size:           2
        .value_kind:     hidden_remainder_z
      - .offset:         152
        .size:           8
        .value_kind:     hidden_global_offset_x
      - .offset:         160
        .size:           8
        .value_kind:     hidden_global_offset_y
      - .offset:         168
        .size:           8
        .value_kind:     hidden_global_offset_z
      - .offset:         176
        .size:           2
        .value_kind:     hidden_grid_dims
    .group_segment_fixed_size: 0
    .kernarg_segment_align: 8
    .kernarg_segment_size: 368
    .language:       OpenCL C
    .language_version:
      - 2
      - 0
    .max_flat_workgroup_size: 1024
    .name:           _ZL10tri_kernelI14__hip_bfloat16Lb0ELi1EEvPKT_PS1_llllllllllll
    .private_segment_fixed_size: 0
    .sgpr_count:     38
    .sgpr_spill_count: 0
    .symbol:         _ZL10tri_kernelI14__hip_bfloat16Lb0ELi1EEvPKT_PS1_llllllllllll.kd
    .uniform_work_group_size: 1
    .uses_dynamic_stack: false
    .vgpr_count:     12
    .vgpr_spill_count: 0
    .wavefront_size: 32
amdhsa.target:   amdgcn-amd-amdhsa--gfx1250
amdhsa.version:
  - 1
  - 2
...

	.end_amdgpu_metadata
